;; amdgpu-corpus repo=ROCm/rocFFT kind=compiled arch=gfx1030 opt=O3
	.text
	.amdgcn_target "amdgcn-amd-amdhsa--gfx1030"
	.amdhsa_code_object_version 6
	.protected	fft_rtc_fwd_len1734_factors_17_17_6_wgs_102_tpt_102_halfLds_dp_ip_CI_unitstride_sbrr_dirReg ; -- Begin function fft_rtc_fwd_len1734_factors_17_17_6_wgs_102_tpt_102_halfLds_dp_ip_CI_unitstride_sbrr_dirReg
	.globl	fft_rtc_fwd_len1734_factors_17_17_6_wgs_102_tpt_102_halfLds_dp_ip_CI_unitstride_sbrr_dirReg
	.p2align	8
	.type	fft_rtc_fwd_len1734_factors_17_17_6_wgs_102_tpt_102_halfLds_dp_ip_CI_unitstride_sbrr_dirReg,@function
fft_rtc_fwd_len1734_factors_17_17_6_wgs_102_tpt_102_halfLds_dp_ip_CI_unitstride_sbrr_dirReg: ; @fft_rtc_fwd_len1734_factors_17_17_6_wgs_102_tpt_102_halfLds_dp_ip_CI_unitstride_sbrr_dirReg
; %bb.0:
	s_clause 0x2
	s_load_dwordx4 s[8:11], s[4:5], 0x0
	s_load_dwordx2 s[2:3], s[4:5], 0x50
	s_load_dwordx2 s[12:13], s[4:5], 0x18
	v_mul_u32_u24_e32 v1, 0x283, v0
	v_mov_b32_e32 v3, 0
	v_add_nc_u32_sdwa v5, s6, v1 dst_sel:DWORD dst_unused:UNUSED_PAD src0_sel:DWORD src1_sel:WORD_1
	v_mov_b32_e32 v1, 0
	v_mov_b32_e32 v6, v3
	v_mov_b32_e32 v2, 0
	s_waitcnt lgkmcnt(0)
	v_cmp_lt_u64_e64 s0, s[10:11], 2
	s_and_b32 vcc_lo, exec_lo, s0
	s_cbranch_vccnz .LBB0_8
; %bb.1:
	s_load_dwordx2 s[0:1], s[4:5], 0x10
	v_mov_b32_e32 v1, 0
	s_add_u32 s6, s12, 8
	v_mov_b32_e32 v2, 0
	s_addc_u32 s7, s13, 0
	s_mov_b64 s[16:17], 1
	s_waitcnt lgkmcnt(0)
	s_add_u32 s14, s0, 8
	s_addc_u32 s15, s1, 0
.LBB0_2:                                ; =>This Inner Loop Header: Depth=1
	s_load_dwordx2 s[18:19], s[14:15], 0x0
                                        ; implicit-def: $vgpr7_vgpr8
	s_mov_b32 s0, exec_lo
	s_waitcnt lgkmcnt(0)
	v_or_b32_e32 v4, s19, v6
	v_cmpx_ne_u64_e32 0, v[3:4]
	s_xor_b32 s1, exec_lo, s0
	s_cbranch_execz .LBB0_4
; %bb.3:                                ;   in Loop: Header=BB0_2 Depth=1
	v_cvt_f32_u32_e32 v4, s18
	v_cvt_f32_u32_e32 v7, s19
	s_sub_u32 s0, 0, s18
	s_subb_u32 s20, 0, s19
	v_fmac_f32_e32 v4, 0x4f800000, v7
	v_rcp_f32_e32 v4, v4
	v_mul_f32_e32 v4, 0x5f7ffffc, v4
	v_mul_f32_e32 v7, 0x2f800000, v4
	v_trunc_f32_e32 v7, v7
	v_fmac_f32_e32 v4, 0xcf800000, v7
	v_cvt_u32_f32_e32 v7, v7
	v_cvt_u32_f32_e32 v4, v4
	v_mul_lo_u32 v8, s0, v7
	v_mul_hi_u32 v9, s0, v4
	v_mul_lo_u32 v10, s20, v4
	v_add_nc_u32_e32 v8, v9, v8
	v_mul_lo_u32 v9, s0, v4
	v_add_nc_u32_e32 v8, v8, v10
	v_mul_hi_u32 v10, v4, v9
	v_mul_lo_u32 v11, v4, v8
	v_mul_hi_u32 v12, v4, v8
	v_mul_hi_u32 v13, v7, v9
	v_mul_lo_u32 v9, v7, v9
	v_mul_hi_u32 v14, v7, v8
	v_mul_lo_u32 v8, v7, v8
	v_add_co_u32 v10, vcc_lo, v10, v11
	v_add_co_ci_u32_e32 v11, vcc_lo, 0, v12, vcc_lo
	v_add_co_u32 v9, vcc_lo, v10, v9
	v_add_co_ci_u32_e32 v9, vcc_lo, v11, v13, vcc_lo
	v_add_co_ci_u32_e32 v10, vcc_lo, 0, v14, vcc_lo
	v_add_co_u32 v8, vcc_lo, v9, v8
	v_add_co_ci_u32_e32 v9, vcc_lo, 0, v10, vcc_lo
	v_add_co_u32 v4, vcc_lo, v4, v8
	v_add_co_ci_u32_e32 v7, vcc_lo, v7, v9, vcc_lo
	v_mul_hi_u32 v8, s0, v4
	v_mul_lo_u32 v10, s20, v4
	v_mul_lo_u32 v9, s0, v7
	v_add_nc_u32_e32 v8, v8, v9
	v_mul_lo_u32 v9, s0, v4
	v_add_nc_u32_e32 v8, v8, v10
	v_mul_hi_u32 v10, v4, v9
	v_mul_lo_u32 v11, v4, v8
	v_mul_hi_u32 v12, v4, v8
	v_mul_hi_u32 v13, v7, v9
	v_mul_lo_u32 v9, v7, v9
	v_mul_hi_u32 v14, v7, v8
	v_mul_lo_u32 v8, v7, v8
	v_add_co_u32 v10, vcc_lo, v10, v11
	v_add_co_ci_u32_e32 v11, vcc_lo, 0, v12, vcc_lo
	v_add_co_u32 v9, vcc_lo, v10, v9
	v_add_co_ci_u32_e32 v9, vcc_lo, v11, v13, vcc_lo
	v_add_co_ci_u32_e32 v10, vcc_lo, 0, v14, vcc_lo
	v_add_co_u32 v8, vcc_lo, v9, v8
	v_add_co_ci_u32_e32 v9, vcc_lo, 0, v10, vcc_lo
	v_add_co_u32 v4, vcc_lo, v4, v8
	v_add_co_ci_u32_e32 v11, vcc_lo, v7, v9, vcc_lo
	v_mul_hi_u32 v13, v5, v4
	v_mad_u64_u32 v[9:10], null, v6, v4, 0
	v_mad_u64_u32 v[7:8], null, v5, v11, 0
	;; [unrolled: 1-line block ×3, first 2 shown]
	v_add_co_u32 v4, vcc_lo, v13, v7
	v_add_co_ci_u32_e32 v7, vcc_lo, 0, v8, vcc_lo
	v_add_co_u32 v4, vcc_lo, v4, v9
	v_add_co_ci_u32_e32 v4, vcc_lo, v7, v10, vcc_lo
	v_add_co_ci_u32_e32 v7, vcc_lo, 0, v12, vcc_lo
	v_add_co_u32 v4, vcc_lo, v4, v11
	v_add_co_ci_u32_e32 v9, vcc_lo, 0, v7, vcc_lo
	v_mul_lo_u32 v10, s19, v4
	v_mad_u64_u32 v[7:8], null, s18, v4, 0
	v_mul_lo_u32 v11, s18, v9
	v_sub_co_u32 v7, vcc_lo, v5, v7
	v_add3_u32 v8, v8, v11, v10
	v_sub_nc_u32_e32 v10, v6, v8
	v_subrev_co_ci_u32_e64 v10, s0, s19, v10, vcc_lo
	v_add_co_u32 v11, s0, v4, 2
	v_add_co_ci_u32_e64 v12, s0, 0, v9, s0
	v_sub_co_u32 v13, s0, v7, s18
	v_sub_co_ci_u32_e32 v8, vcc_lo, v6, v8, vcc_lo
	v_subrev_co_ci_u32_e64 v10, s0, 0, v10, s0
	v_cmp_le_u32_e32 vcc_lo, s18, v13
	v_cmp_eq_u32_e64 s0, s19, v8
	v_cndmask_b32_e64 v13, 0, -1, vcc_lo
	v_cmp_le_u32_e32 vcc_lo, s19, v10
	v_cndmask_b32_e64 v14, 0, -1, vcc_lo
	v_cmp_le_u32_e32 vcc_lo, s18, v7
	;; [unrolled: 2-line block ×3, first 2 shown]
	v_cndmask_b32_e64 v15, 0, -1, vcc_lo
	v_cmp_eq_u32_e32 vcc_lo, s19, v10
	v_cndmask_b32_e64 v7, v15, v7, s0
	v_cndmask_b32_e32 v10, v14, v13, vcc_lo
	v_add_co_u32 v13, vcc_lo, v4, 1
	v_add_co_ci_u32_e32 v14, vcc_lo, 0, v9, vcc_lo
	v_cmp_ne_u32_e32 vcc_lo, 0, v10
	v_cndmask_b32_e32 v8, v14, v12, vcc_lo
	v_cndmask_b32_e32 v10, v13, v11, vcc_lo
	v_cmp_ne_u32_e32 vcc_lo, 0, v7
	v_cndmask_b32_e32 v8, v9, v8, vcc_lo
	v_cndmask_b32_e32 v7, v4, v10, vcc_lo
.LBB0_4:                                ;   in Loop: Header=BB0_2 Depth=1
	s_andn2_saveexec_b32 s0, s1
	s_cbranch_execz .LBB0_6
; %bb.5:                                ;   in Loop: Header=BB0_2 Depth=1
	v_cvt_f32_u32_e32 v4, s18
	s_sub_i32 s1, 0, s18
	v_rcp_iflag_f32_e32 v4, v4
	v_mul_f32_e32 v4, 0x4f7ffffe, v4
	v_cvt_u32_f32_e32 v4, v4
	v_mul_lo_u32 v7, s1, v4
	v_mul_hi_u32 v7, v4, v7
	v_add_nc_u32_e32 v4, v4, v7
	v_mul_hi_u32 v4, v5, v4
	v_mul_lo_u32 v7, v4, s18
	v_add_nc_u32_e32 v8, 1, v4
	v_sub_nc_u32_e32 v7, v5, v7
	v_subrev_nc_u32_e32 v9, s18, v7
	v_cmp_le_u32_e32 vcc_lo, s18, v7
	v_cndmask_b32_e32 v7, v7, v9, vcc_lo
	v_cndmask_b32_e32 v4, v4, v8, vcc_lo
	v_cmp_le_u32_e32 vcc_lo, s18, v7
	v_add_nc_u32_e32 v8, 1, v4
	v_cndmask_b32_e32 v7, v4, v8, vcc_lo
	v_mov_b32_e32 v8, v3
.LBB0_6:                                ;   in Loop: Header=BB0_2 Depth=1
	s_or_b32 exec_lo, exec_lo, s0
	s_load_dwordx2 s[0:1], s[6:7], 0x0
	v_mul_lo_u32 v4, v8, s18
	v_mul_lo_u32 v11, v7, s19
	v_mad_u64_u32 v[9:10], null, v7, s18, 0
	s_add_u32 s16, s16, 1
	s_addc_u32 s17, s17, 0
	s_add_u32 s6, s6, 8
	s_addc_u32 s7, s7, 0
	;; [unrolled: 2-line block ×3, first 2 shown]
	v_add3_u32 v4, v10, v11, v4
	v_sub_co_u32 v5, vcc_lo, v5, v9
	v_sub_co_ci_u32_e32 v4, vcc_lo, v6, v4, vcc_lo
	s_waitcnt lgkmcnt(0)
	v_mul_lo_u32 v6, s1, v5
	v_mul_lo_u32 v4, s0, v4
	v_mad_u64_u32 v[1:2], null, s0, v5, v[1:2]
	v_cmp_ge_u64_e64 s0, s[16:17], s[10:11]
	s_and_b32 vcc_lo, exec_lo, s0
	v_add3_u32 v2, v6, v2, v4
	s_cbranch_vccnz .LBB0_9
; %bb.7:                                ;   in Loop: Header=BB0_2 Depth=1
	v_mov_b32_e32 v5, v7
	v_mov_b32_e32 v6, v8
	s_branch .LBB0_2
.LBB0_8:
	v_mov_b32_e32 v8, v6
	v_mov_b32_e32 v7, v5
.LBB0_9:
	s_lshl_b64 s[0:1], s[10:11], 3
	v_mul_hi_u32 v5, 0x2828283, v0
	s_add_u32 s0, s12, s0
	s_addc_u32 s1, s13, s1
                                        ; implicit-def: $vgpr10_vgpr11
                                        ; implicit-def: $vgpr14_vgpr15
                                        ; implicit-def: $vgpr18_vgpr19
                                        ; implicit-def: $vgpr30_vgpr31
                                        ; implicit-def: $vgpr34_vgpr35
                                        ; implicit-def: $vgpr38_vgpr39
                                        ; implicit-def: $vgpr22_vgpr23
                                        ; implicit-def: $vgpr26_vgpr27
                                        ; implicit-def: $vgpr42_vgpr43
                                        ; implicit-def: $vgpr50_vgpr51
                                        ; implicit-def: $vgpr58_vgpr59
                                        ; implicit-def: $vgpr62_vgpr63
                                        ; implicit-def: $vgpr54_vgpr55
                                        ; implicit-def: $vgpr46_vgpr47
                                        ; implicit-def: $vgpr66_vgpr67
	s_load_dwordx2 s[0:1], s[0:1], 0x0
	s_load_dwordx2 s[4:5], s[4:5], 0x20
	s_waitcnt lgkmcnt(0)
	v_mul_lo_u32 v3, s0, v8
	v_mul_lo_u32 v4, s1, v7
	v_mad_u64_u32 v[1:2], null, s0, v7, v[1:2]
	v_cmp_gt_u64_e32 vcc_lo, s[4:5], v[7:8]
                                        ; implicit-def: $vgpr6_vgpr7
	v_add3_u32 v2, v4, v2, v3
	v_mul_u32_u24_e32 v3, 0x66, v5
	v_lshlrev_b64 v[78:79], 4, v[1:2]
	v_sub_nc_u32_e32 v76, v0, v3
                                        ; implicit-def: $vgpr2_vgpr3
	s_and_saveexec_b32 s1, vcc_lo
	s_cbranch_execz .LBB0_11
; %bb.10:
	v_mov_b32_e32 v77, 0
	v_add_co_u32 v2, s0, s2, v78
	v_add_co_ci_u32_e64 v3, s0, s3, v79, s0
	v_lshlrev_b64 v[0:1], 4, v[76:77]
	v_add_co_u32 v4, s0, v2, v0
	v_add_co_ci_u32_e64 v5, s0, v3, v1, s0
	v_add_co_u32 v6, s0, 0x800, v4
	v_add_co_ci_u32_e64 v7, s0, 0, v5, s0
	v_add_co_u32 v8, s0, 0x1000, v4
	v_add_co_ci_u32_e64 v9, s0, 0, v5, s0
	s_clause 0x3
	global_load_dwordx4 v[0:3], v[4:5], off
	global_load_dwordx4 v[64:67], v[4:5], off offset:1632
	global_load_dwordx4 v[44:47], v[6:7], off offset:1216
	;; [unrolled: 1-line block ×3, first 2 shown]
	v_add_co_u32 v6, s0, 0x1800, v4
	v_add_co_ci_u32_e64 v7, s0, 0, v5, s0
	v_add_co_u32 v8, s0, 0x2000, v4
	v_add_co_ci_u32_e64 v9, s0, 0, v5, s0
	;; [unrolled: 2-line block ×5, first 2 shown]
	s_clause 0x5
	global_load_dwordx4 v[60:63], v[6:7], off offset:384
	global_load_dwordx4 v[56:59], v[6:7], off offset:2016
	;; [unrolled: 1-line block ×6, first 2 shown]
	v_add_co_u32 v6, s0, 0x4000, v4
	v_add_co_ci_u32_e64 v7, s0, 0, v5, s0
	v_add_co_u32 v8, s0, 0x4800, v4
	v_add_co_ci_u32_e64 v9, s0, 0, v5, s0
	;; [unrolled: 2-line block ×5, first 2 shown]
	s_clause 0x6
	global_load_dwordx4 v[36:39], v[14:15], off offset:1984
	global_load_dwordx4 v[32:35], v[6:7], off offset:1568
	;; [unrolled: 1-line block ×7, first 2 shown]
.LBB0_11:
	s_or_b32 exec_lo, exec_lo, s1
	s_waitcnt vmcnt(15)
	v_add_f64 v[102:103], v[64:65], v[0:1]
	v_add_f64 v[106:107], v[66:67], v[2:3]
	s_waitcnt vmcnt(0)
	v_add_f64 v[112:113], v[4:5], v[64:65]
	v_add_f64 v[114:115], v[64:65], -v[4:5]
	v_add_f64 v[104:105], v[6:7], v[66:67]
	v_add_f64 v[84:85], v[30:31], v[58:59]
	v_add_f64 v[98:99], v[58:59], -v[30:31]
	s_mov_b32 s14, 0x370991
	s_mov_b32 s12, 0x75d4884
	;; [unrolled: 1-line block ×6, first 2 shown]
	v_add_f64 v[96:97], v[36:37], v[40:41]
	v_add_f64 v[72:73], v[38:39], v[42:43]
	v_add_f64 v[74:75], v[40:41], -v[36:37]
	v_add_f64 v[90:91], v[42:43], -v[38:39]
	v_add_f64 v[120:121], v[8:9], v[44:45]
	s_mov_b32 s36, 0x5d8e7cdc
	s_mov_b32 s30, 0x2a9d6da3
	;; [unrolled: 1-line block ×4, first 2 shown]
	v_add_f64 v[64:65], v[44:45], v[102:103]
	v_add_f64 v[102:103], v[46:47], v[106:107]
	v_add_f64 v[106:107], v[66:67], -v[6:7]
	v_mul_f64 v[124:125], v[112:113], s[12:13]
	v_mul_f64 v[134:135], v[112:113], s[22:23]
	s_mov_b32 s52, 0x4363dd80
	s_mov_b32 s37, 0x3fd71e95
	;; [unrolled: 1-line block ×6, first 2 shown]
	v_add_f64 v[92:93], v[20:21], v[24:25]
	v_add_f64 v[68:69], v[22:23], v[26:27]
	v_add_f64 v[70:71], v[24:25], -v[20:21]
	v_add_f64 v[88:89], v[26:27], -v[22:23]
	v_add_f64 v[122:123], v[12:13], v[52:53]
	v_mul_f64 v[126:127], v[112:113], s[10:11]
	v_mul_f64 v[150:151], v[120:121], s[4:5]
	;; [unrolled: 1-line block ×4, first 2 shown]
	s_mov_b32 s26, 0x7c9e640b
	s_mov_b32 s20, 0xeb564b22
	v_add_f64 v[64:65], v[52:53], v[64:65]
	v_add_f64 v[66:67], v[54:55], v[102:103]
	v_add_f64 v[102:103], v[46:47], -v[10:11]
	v_fma_f64 v[210:211], v[106:107], s[30:31], v[124:125]
	v_fma_f64 v[218:219], v[106:107], s[52:53], v[134:135]
	s_mov_b32 s16, 0xc61f0d01
	s_mov_b32 s18, 0x6ed5f1bb
	;; [unrolled: 1-line block ×10, first 2 shown]
	v_add_f64 v[108:109], v[28:29], v[56:57]
	v_add_f64 v[86:87], v[56:57], -v[28:29]
	v_add_f64 v[110:111], v[16:17], v[60:61]
	v_mul_f64 v[128:129], v[112:113], s[4:5]
	v_mul_f64 v[130:131], v[112:113], s[16:17]
	;; [unrolled: 1-line block ×4, first 2 shown]
	v_add_f64 v[116:117], v[60:61], v[64:65]
	v_add_f64 v[118:119], v[62:63], v[66:67]
	v_add_f64 v[66:67], v[54:55], -v[14:15]
	v_mul_f64 v[166:167], v[122:123], s[4:5]
	v_mul_f64 v[174:175], v[122:123], s[10:11]
	v_fma_f64 v[212:213], v[106:107], s[26:27], v[126:127]
	v_fma_f64 v[222:223], v[102:103], s[20:21], v[150:151]
	v_add_f64 v[210:211], v[0:1], v[210:211]
	v_add_f64 v[218:219], v[0:1], v[218:219]
	s_mov_b32 s48, 0x923c349f
	s_mov_b32 s44, 0x6c9a05f6
	;; [unrolled: 1-line block ×13, first 2 shown]
	v_add_f64 v[116:117], v[56:57], v[116:117]
	v_add_f64 v[58:59], v[58:59], v[118:119]
	v_mul_f64 v[118:119], v[112:113], s[14:15]
	v_mul_f64 v[112:113], v[112:113], s[6:7]
	;; [unrolled: 1-line block ×3, first 2 shown]
	s_mov_b32 s40, s36
	s_mov_b32 s46, s30
	s_mov_b32 s42, s20
	s_mov_b32 s24, s48
	s_mov_b32 s34, s44
	s_mov_b32 s38, s52
	s_mov_b32 s28, s54
	v_add_f64 v[64:65], v[18:19], v[62:63]
	v_add_f64 v[62:63], v[62:63], -v[18:19]
	v_mul_f64 v[146:147], v[114:115], s[34:35]
	v_mul_f64 v[156:157], v[120:121], s[6:7]
	;; [unrolled: 1-line block ×8, first 2 shown]
	v_add_f64 v[116:117], v[48:49], v[116:117]
	v_add_f64 v[154:155], v[50:51], v[58:59]
	v_fma_f64 v[214:215], v[106:107], s[20:21], v[128:129]
	v_fma_f64 v[216:217], v[106:107], s[48:49], v[130:131]
	;; [unrolled: 1-line block ×9, first 2 shown]
	v_add_f64 v[212:213], v[0:1], v[212:213]
	v_fma_f64 v[236:237], v[66:67], s[44:45], v[56:57]
	v_add_f64 v[210:211], v[222:223], v[210:211]
	v_add_f64 v[100:101], v[32:33], v[48:49]
	;; [unrolled: 1-line block ×3, first 2 shown]
	v_add_f64 v[82:83], v[48:49], -v[32:33]
	v_add_f64 v[94:95], v[50:51], -v[34:35]
	v_mul_f64 v[48:49], v[122:123], s[6:7]
	v_mul_f64 v[58:59], v[122:123], s[16:17]
	;; [unrolled: 1-line block ×4, first 2 shown]
	v_add_f64 v[40:41], v[40:41], v[116:117]
	v_add_f64 v[42:43], v[42:43], v[154:155]
	v_mul_f64 v[192:193], v[108:109], s[14:15]
	v_mul_f64 v[194:195], v[108:109], s[16:17]
	;; [unrolled: 1-line block ×3, first 2 shown]
	v_fma_f64 v[222:223], v[104:105], s[18:19], v[146:147]
	v_mul_f64 v[136:137], v[114:115], s[40:41]
	v_mul_f64 v[138:139], v[114:115], s[46:47]
	;; [unrolled: 1-line block ×3, first 2 shown]
	v_add_f64 v[220:221], v[0:1], v[220:221]
	v_mul_f64 v[142:143], v[114:115], s[42:43]
	v_add_f64 v[212:213], v[224:225], v[212:213]
	v_fma_f64 v[224:225], v[62:63], s[54:55], v[170:171]
	v_add_f64 v[210:211], v[236:237], v[210:211]
	v_mul_f64 v[144:145], v[114:115], s[24:25]
	v_mul_f64 v[148:149], v[114:115], s[38:39]
	;; [unrolled: 1-line block ×8, first 2 shown]
	v_add_f64 v[24:25], v[24:25], v[40:41]
	v_add_f64 v[26:27], v[26:27], v[42:43]
	v_fma_f64 v[40:41], v[106:107], s[36:37], v[118:119]
	v_fma_f64 v[42:43], v[106:107], s[40:41], v[118:119]
	;; [unrolled: 1-line block ×8, first 2 shown]
	v_add_f64 v[214:215], v[0:1], v[214:215]
	v_fma_f64 v[238:239], v[66:67], s[28:29], v[48:49]
	v_mul_f64 v[186:187], v[108:109], s[22:23]
	v_add_f64 v[210:211], v[224:225], v[210:211]
	v_fma_f64 v[224:225], v[66:67], s[52:53], v[122:123]
	v_fma_f64 v[122:123], v[66:67], s[38:39], v[122:123]
	v_mul_f64 v[188:189], v[108:109], s[12:13]
	v_mul_f64 v[116:117], v[108:109], s[10:11]
	;; [unrolled: 1-line block ×5, first 2 shown]
	v_fma_f64 v[112:113], v[104:105], s[14:15], v[136:137]
	v_add_f64 v[20:21], v[20:21], v[24:25]
	v_add_f64 v[22:23], v[22:23], v[26:27]
	v_fma_f64 v[24:25], v[102:103], s[50:51], v[162:163]
	v_fma_f64 v[26:27], v[102:103], s[30:31], v[168:169]
	v_add_f64 v[40:41], v[0:1], v[40:41]
	v_add_f64 v[132:133], v[0:1], v[132:133]
	v_add_f64 v[106:107], v[0:1], v[106:107]
	v_fma_f64 v[136:137], v[104:105], s[14:15], -v[136:137]
	v_fma_f64 v[232:233], v[104:105], s[12:13], v[138:139]
	v_fma_f64 v[138:139], v[104:105], s[12:13], -v[138:139]
	v_fma_f64 v[234:235], v[104:105], s[10:11], v[140:141]
	v_add_f64 v[134:135], v[0:1], v[134:135]
	v_fma_f64 v[228:229], v[102:103], s[38:39], v[158:159]
	v_add_f64 v[216:217], v[0:1], v[216:217]
	v_add_f64 v[214:215], v[226:227], v[214:215]
	v_fma_f64 v[226:227], v[62:63], s[24:25], v[172:173]
	v_add_f64 v[212:213], v[238:239], v[212:213]
	v_add_f64 v[118:119], v[0:1], v[118:119]
	v_mul_f64 v[196:197], v[100:101], s[16:17]
	v_mul_f64 v[198:199], v[100:101], s[14:15]
	;; [unrolled: 1-line block ×4, first 2 shown]
	v_add_f64 v[20:21], v[36:37], v[20:21]
	v_add_f64 v[22:23], v[38:39], v[22:23]
	v_fma_f64 v[36:37], v[66:67], s[20:21], v[166:167]
	v_fma_f64 v[38:39], v[66:67], s[26:27], v[174:175]
	v_add_f64 v[24:25], v[24:25], v[218:219]
	v_add_f64 v[26:27], v[26:27], v[40:41]
	v_fma_f64 v[40:41], v[104:105], s[10:11], -v[140:141]
	v_fma_f64 v[140:141], v[104:105], s[4:5], v[142:143]
	v_fma_f64 v[142:143], v[104:105], s[4:5], -v[142:143]
	v_fma_f64 v[218:219], v[104:105], s[16:17], v[144:145]
	v_fma_f64 v[144:145], v[104:105], s[16:17], -v[144:145]
	v_add_f64 v[132:133], v[160:161], v[132:133]
	v_mul_f64 v[204:205], v[100:101], s[12:13]
	v_mul_f64 v[206:207], v[100:101], s[6:7]
	;; [unrolled: 1-line block ×4, first 2 shown]
	v_add_f64 v[128:129], v[0:1], v[128:129]
	v_add_f64 v[130:131], v[0:1], v[130:131]
	;; [unrolled: 1-line block ×3, first 2 shown]
	v_fma_f64 v[150:151], v[102:103], s[42:43], v[150:151]
	v_add_f64 v[126:127], v[0:1], v[126:127]
	v_fma_f64 v[152:153], v[102:103], s[34:35], v[152:153]
	v_add_f64 v[20:21], v[32:33], v[20:21]
	v_add_f64 v[22:23], v[34:35], v[22:23]
	v_fma_f64 v[32:33], v[62:63], s[34:35], v[182:183]
	v_fma_f64 v[34:35], v[62:63], s[20:21], v[184:185]
	v_add_f64 v[24:25], v[36:37], v[24:25]
	v_add_f64 v[26:27], v[38:39], v[26:27]
	v_fma_f64 v[36:37], v[104:105], s[18:19], -v[146:147]
	v_fma_f64 v[146:147], v[102:103], s[40:41], v[120:121]
	v_fma_f64 v[120:121], v[102:103], s[36:37], v[120:121]
	v_fma_f64 v[38:39], v[104:105], s[22:23], v[148:149]
	v_add_f64 v[44:45], v[44:45], -v[8:9]
	v_add_f64 v[0:1], v[0:1], v[42:43]
	v_fma_f64 v[242:243], v[66:67], s[46:47], v[50:51]
	v_add_f64 v[216:217], v[228:229], v[216:217]
	v_fma_f64 v[238:239], v[98:99], s[46:47], v[188:189]
	;; [unrolled: 2-line block ×3, first 2 shown]
	v_fma_f64 v[244:245], v[66:67], s[36:37], v[164:165]
	v_add_f64 v[118:119], v[230:231], v[118:119]
	v_fma_f64 v[58:59], v[66:67], s[48:49], v[58:59]
	v_fma_f64 v[50:51], v[66:67], s[30:31], v[50:51]
	v_add_f64 v[124:125], v[150:151], v[124:125]
	v_add_f64 v[20:21], v[28:29], v[20:21]
	;; [unrolled: 1-line block ×3, first 2 shown]
	v_fma_f64 v[28:29], v[98:99], s[36:37], v[192:193]
	v_fma_f64 v[30:31], v[98:99], s[48:49], v[194:195]
	v_add_f64 v[24:25], v[32:33], v[24:25]
	v_add_f64 v[26:27], v[34:35], v[26:27]
	v_fma_f64 v[56:57], v[66:67], s[34:35], v[56:57]
	v_add_f64 v[146:147], v[146:147], v[220:221]
	v_add_f64 v[106:107], v[120:121], v[106:107]
	;; [unrolled: 1-line block ×3, first 2 shown]
	v_fma_f64 v[48:49], v[66:67], s[54:55], v[48:49]
	v_add_f64 v[52:53], v[52:53], -v[12:13]
	v_add_f64 v[46:47], v[10:11], v[46:47]
	v_mul_f64 v[42:43], v[44:45], s[46:47]
	v_add_f64 v[54:55], v[14:15], v[54:55]
	v_fma_f64 v[230:231], v[62:63], s[26:27], v[178:179]
	v_add_f64 v[216:217], v[242:243], v[216:217]
	v_fma_f64 v[34:35], v[94:95], s[36:37], v[198:199]
	;; [unrolled: 2-line block ×4, first 2 shown]
	v_add_f64 v[118:119], v[244:245], v[118:119]
	v_add_f64 v[18:19], v[18:19], v[22:23]
	v_add_f64 v[60:61], v[60:61], -v[16:17]
	v_add_f64 v[16:17], v[16:17], v[20:21]
	v_add_f64 v[24:25], v[28:29], v[24:25]
	;; [unrolled: 1-line block ×3, first 2 shown]
	v_fma_f64 v[28:29], v[104:105], s[22:23], -v[148:149]
	v_fma_f64 v[30:31], v[104:105], s[6:7], v[114:115]
	v_fma_f64 v[148:149], v[62:63], s[46:47], v[110:111]
	;; [unrolled: 1-line block ×3, first 2 shown]
	v_add_f64 v[106:107], v[122:123], v[106:107]
	v_fma_f64 v[104:105], v[104:105], s[6:7], -v[114:115]
	v_fma_f64 v[114:115], v[102:103], s[26:27], v[162:163]
	v_add_f64 v[146:147], v[224:225], v[146:147]
	v_fma_f64 v[122:123], v[66:67], s[40:41], v[164:165]
	v_add_f64 v[56:57], v[56:57], v[124:125]
	v_add_f64 v[48:49], v[48:49], v[126:127]
	;; [unrolled: 1-line block ×3, first 2 shown]
	v_fma_f64 v[236:237], v[98:99], s[38:39], v[186:187]
	v_fma_f64 v[242:243], v[98:99], s[54:55], v[154:155]
	v_add_f64 v[216:217], v[230:231], v[216:217]
	v_fma_f64 v[22:23], v[94:95], s[44:45], v[208:209]
	v_add_f64 v[34:35], v[34:35], v[212:213]
	v_add_f64 v[14:15], v[14:15], v[18:19]
	v_mul_f64 v[18:19], v[96:97], s[4:5]
	v_fma_f64 v[150:151], v[98:99], s[40:41], v[192:193]
	v_fma_f64 v[240:241], v[98:99], s[26:27], v[116:117]
	v_add_f64 v[214:215], v[228:229], v[214:215]
	v_fma_f64 v[20:21], v[94:95], s[54:55], v[206:207]
	v_fma_f64 v[244:245], v[98:99], s[42:43], v[190:191]
	v_add_f64 v[118:119], v[246:247], v[118:119]
	v_fma_f64 v[116:117], v[98:99], s[50:51], v[116:117]
	v_add_f64 v[106:107], v[110:111], v[106:107]
	v_fma_f64 v[110:111], v[98:99], s[44:45], v[108:109]
	v_fma_f64 v[108:109], v[98:99], s[34:35], v[108:109]
	v_add_f64 v[114:115], v[114:115], v[134:135]
	v_fma_f64 v[134:135], v[102:103], s[28:29], v[156:157]
	v_fma_f64 v[156:157], v[102:103], s[52:53], v[158:159]
	v_add_f64 v[146:147], v[148:149], v[146:147]
	v_add_f64 v[122:123], v[122:123], v[132:133]
	v_fma_f64 v[132:133], v[66:67], s[42:43], v[166:167]
	v_fma_f64 v[148:149], v[62:63], s[38:39], v[180:181]
	;; [unrolled: 1-line block ×5, first 2 shown]
	v_add_f64 v[12:13], v[12:13], v[16:17]
	v_fma_f64 v[166:167], v[90:91], s[20:21], v[18:19]
	v_fma_f64 v[154:155], v[98:99], s[52:53], v[186:187]
	v_add_f64 v[124:125], v[2:3], v[136:137]
	v_fma_f64 v[32:33], v[94:95], s[24:25], v[196:197]
	v_fma_f64 v[220:221], v[94:95], s[42:43], v[202:203]
	v_add_f64 v[210:211], v[236:237], v[210:211]
	v_add_f64 v[216:217], v[242:243], v[216:217]
	v_mul_f64 v[16:17], v[96:97], s[10:11]
	v_add_f64 v[22:23], v[22:23], v[26:27]
	v_mul_f64 v[26:27], v[96:97], s[14:15]
	v_add_f64 v[106:107], v[108:109], v[106:107]
	v_fma_f64 v[108:109], v[94:95], s[50:51], v[100:101]
	v_add_f64 v[128:129], v[134:135], v[128:129]
	v_fma_f64 v[100:101], v[94:95], s[26:27], v[100:101]
	v_add_f64 v[130:131], v[156:157], v[130:131]
	v_add_f64 v[110:111], v[110:111], v[146:147]
	;; [unrolled: 1-line block ×4, first 2 shown]
	v_fma_f64 v[132:133], v[62:63], s[44:45], v[182:183]
	v_fma_f64 v[134:135], v[98:99], s[20:21], v[190:191]
	v_add_f64 v[0:1], v[102:103], v[0:1]
	v_fma_f64 v[146:147], v[46:47], s[12:13], v[42:43]
	v_mul_f64 v[102:103], v[52:53], s[50:51]
	v_add_f64 v[34:35], v[166:167], v[34:35]
	v_fma_f64 v[166:167], v[94:95], s[46:47], v[204:205]
	v_fma_f64 v[120:121], v[94:95], s[52:53], v[200:201]
	v_add_f64 v[214:215], v[240:241], v[214:215]
	v_add_f64 v[20:21], v[20:21], v[24:25]
	v_mul_f64 v[24:25], v[96:97], s[18:19]
	v_fma_f64 v[226:227], v[94:95], s[30:31], v[204:205]
	v_add_f64 v[118:119], v[244:245], v[118:119]
	v_mul_f64 v[162:163], v[96:97], s[6:7]
	v_mul_f64 v[164:165], v[96:97], s[12:13]
	v_fma_f64 v[168:169], v[94:95], s[28:29], v[206:207]
	v_add_f64 v[58:59], v[58:59], v[128:129]
	v_fma_f64 v[128:129], v[62:63], s[36:37], v[176:177]
	v_add_f64 v[100:101], v[100:101], v[106:107]
	v_add_f64 v[50:51], v[50:51], v[130:131]
	v_fma_f64 v[106:107], v[62:63], s[50:51], v[178:179]
	v_add_f64 v[108:109], v[108:109], v[110:111]
	v_add_f64 v[110:111], v[132:133], v[114:115]
	;; [unrolled: 1-line block ×3, first 2 shown]
	v_fma_f64 v[122:123], v[62:63], s[28:29], v[170:171]
	v_fma_f64 v[133:134], v[62:63], s[48:49], v[172:173]
	v_add_f64 v[0:1], v[66:67], v[0:1]
	v_fma_f64 v[62:63], v[62:63], s[42:43], v[184:185]
	v_add_f64 v[131:132], v[2:3], v[138:139]
	v_add_f64 v[112:113], v[146:147], v[112:113]
	v_fma_f64 v[66:67], v[54:55], s[10:11], v[102:103]
	v_mul_f64 v[137:138], v[60:61], s[42:43]
	v_fma_f64 v[170:171], v[94:95], s[38:39], v[200:201]
	v_fma_f64 v[172:173], v[94:95], s[20:21], v[202:203]
	v_add_f64 v[8:9], v[8:9], v[12:13]
	v_add_f64 v[32:33], v[32:33], v[210:211]
	;; [unrolled: 1-line block ×3, first 2 shown]
	v_fma_f64 v[158:159], v[90:91], s[50:51], v[16:17]
	v_fma_f64 v[210:211], v[90:91], s[36:37], v[26:27]
	v_add_f64 v[58:59], v[128:129], v[58:59]
	v_mul_f64 v[135:136], v[92:93], s[14:15]
	v_mul_f64 v[128:129], v[92:93], s[22:23]
	v_add_f64 v[50:51], v[106:107], v[50:51]
	v_add_f64 v[120:121], v[120:121], v[214:215]
	;; [unrolled: 1-line block ×3, first 2 shown]
	v_mul_f64 v[150:151], v[96:97], s[22:23]
	v_add_f64 v[56:57], v[122:123], v[56:57]
	v_add_f64 v[48:49], v[133:134], v[48:49]
	v_fma_f64 v[133:134], v[98:99], s[30:31], v[188:189]
	v_add_f64 v[0:1], v[62:63], v[0:1]
	v_fma_f64 v[98:99], v[98:99], s[24:25], v[194:195]
	v_mul_f64 v[96:97], v[96:97], s[16:17]
	v_add_f64 v[66:67], v[66:67], v[112:113]
	v_fma_f64 v[62:63], v[64:65], s[4:5], v[137:138]
	v_mul_f64 v[112:113], v[86:87], s[24:25]
	v_add_f64 v[114:115], v[166:167], v[114:115]
	v_mul_f64 v[166:167], v[92:93], s[6:7]
	v_fma_f64 v[180:181], v[90:91], s[34:35], v[24:25]
	v_mul_f64 v[106:107], v[92:93], s[12:13]
	v_mul_f64 v[122:123], v[92:93], s[18:19]
	v_add_f64 v[118:119], v[226:227], v[118:119]
	v_add_f64 v[58:59], v[116:117], v[58:59]
	v_fma_f64 v[212:213], v[90:91], s[54:55], v[162:163]
	v_fma_f64 v[214:215], v[90:91], s[46:47], v[164:165]
	v_add_f64 v[50:51], v[152:153], v[50:51]
	v_mul_f64 v[174:175], v[92:93], s[16:17]
	v_add_f64 v[110:111], v[168:169], v[110:111]
	v_fma_f64 v[176:177], v[90:91], s[52:53], v[150:151]
	v_add_f64 v[56:57], v[154:155], v[56:57]
	v_mul_f64 v[154:155], v[92:93], s[10:11]
	v_add_f64 v[12:13], v[133:134], v[48:49]
	v_fma_f64 v[48:49], v[94:95], s[48:49], v[196:197]
	v_fma_f64 v[133:134], v[94:95], s[40:41], v[198:199]
	v_add_f64 v[0:1], v[98:99], v[0:1]
	v_fma_f64 v[94:95], v[94:95], s[34:35], v[208:209]
	v_fma_f64 v[168:169], v[90:91], s[48:49], v[96:97]
	;; [unrolled: 1-line block ×3, first 2 shown]
	v_mul_f64 v[92:93], v[92:93], s[4:5]
	v_fma_f64 v[24:25], v[90:91], s[44:45], v[24:25]
	v_fma_f64 v[26:27], v[90:91], s[40:41], v[26:27]
	;; [unrolled: 1-line block ×5, first 2 shown]
	v_add_f64 v[58:59], v[170:171], v[58:59]
	v_fma_f64 v[18:19], v[90:91], s[42:43], v[18:19]
	v_add_f64 v[62:63], v[62:63], v[66:67]
	v_add_f64 v[50:51], v[172:173], v[50:51]
	v_fma_f64 v[66:67], v[84:85], s[16:17], v[112:113]
	v_mul_f64 v[98:99], v[82:83], s[34:35]
	v_fma_f64 v[90:91], v[90:91], s[38:39], v[150:151]
	v_add_f64 v[32:33], v[158:159], v[32:33]
	v_add_f64 v[148:149], v[210:211], v[160:161]
	v_fma_f64 v[158:159], v[88:89], s[40:41], v[135:136]
	v_add_f64 v[48:49], v[48:49], v[56:57]
	v_add_f64 v[12:13], v[133:134], v[12:13]
	;; [unrolled: 3-line block ×3, first 2 shown]
	v_fma_f64 v[94:95], v[88:89], s[54:55], v[166:167]
	v_add_f64 v[120:121], v[180:181], v[120:121]
	v_fma_f64 v[116:117], v[88:89], s[46:47], v[106:107]
	v_fma_f64 v[152:153], v[88:89], s[44:45], v[122:123]
	v_add_f64 v[118:119], v[212:213], v[118:119]
	v_add_f64 v[20:21], v[214:215], v[20:21]
	v_fma_f64 v[170:171], v[88:89], s[50:51], v[154:155]
	v_fma_f64 v[56:57], v[88:89], s[48:49], v[174:175]
	v_add_f64 v[108:109], v[168:169], v[108:109]
	;; [unrolled: 4-line block ×6, first 2 shown]
	v_fma_f64 v[66:67], v[80:81], s[18:19], v[98:99]
	v_mul_f64 v[133:134], v[74:75], s[38:39]
	v_add_f64 v[0:1], v[90:91], v[0:1]
	v_fma_f64 v[88:89], v[88:89], s[28:29], v[166:167]
	v_add_f64 v[32:33], v[158:159], v[32:33]
	v_add_f64 v[34:35], v[160:161], v[34:35]
	;; [unrolled: 1-line block ×13, first 2 shown]
	v_mad_u32_u24 v24, 0x88, v76, 0
	v_add_f64 v[92:93], v[150:151], v[114:115]
	v_add_f64 v[94:95], v[154:155], v[110:111]
	;; [unrolled: 1-line block ×5, first 2 shown]
	v_fma_f64 v[66:67], v[72:73], s[22:23], v[133:134]
	v_mul_f64 v[106:107], v[70:71], s[28:29]
	v_add_f64 v[0:1], v[88:89], v[0:1]
	ds_write2_b64 v24, v[32:33], v[34:35] offset0:2 offset1:3
	ds_write2_b64 v24, v[90:91], v[116:117] offset0:4 offset1:5
	;; [unrolled: 1-line block ×3, first 2 shown]
	ds_write2_b64 v24, v[4:5], v[8:9] offset1:1
	v_mul_f64 v[4:5], v[44:45], s[34:35]
	ds_write2_b64 v24, v[22:23], v[56:57] offset0:8 offset1:9
	ds_write2_b64 v24, v[94:95], v[92:93] offset0:10 offset1:11
	;; [unrolled: 1-line block ×4, first 2 shown]
	v_lshlrev_b32_e32 v12, 7, v76
	v_add_f64 v[27:28], v[2:3], v[28:29]
	v_add_f64 v[48:49], v[66:67], v[62:63]
	v_fma_f64 v[58:59], v[68:69], s[6:7], v[106:107]
	v_add_f64 v[29:30], v[2:3], v[30:31]
	v_add_f64 v[31:32], v[6:7], v[10:11]
	v_mul_f64 v[10:11], v[44:45], s[48:49]
	ds_write_b64 v24, v[0:1] offset:128
	v_mul_f64 v[0:1], v[44:45], s[26:27]
	v_mul_f64 v[14:15], v[44:45], s[42:43]
	v_add_f64 v[40:41], v[2:3], v[40:41]
	v_mul_f64 v[6:7], v[44:45], s[28:29]
	v_mul_f64 v[8:9], v[44:45], s[52:53]
	v_sub_nc_u32_e32 v77, v24, v12
	v_mul_f64 v[12:13], v[44:45], s[36:37]
	v_fma_f64 v[22:23], v[46:47], s[18:19], v[4:5]
	v_fma_f64 v[4:5], v[46:47], s[18:19], -v[4:5]
	v_add_f64 v[146:147], v[2:3], v[234:235]
	v_add_f64 v[18:19], v[2:3], v[222:223]
	;; [unrolled: 1-line block ×4, first 2 shown]
	v_fma_f64 v[16:17], v[46:47], s[12:13], -v[42:43]
	v_add_f64 v[126:127], v[2:3], v[232:233]
	v_mul_f64 v[50:51], v[52:53], s[34:35]
	v_add_f64 v[139:140], v[2:3], v[140:141]
	v_add_f64 v[25:26], v[58:59], v[48:49]
	v_mul_f64 v[58:59], v[52:53], s[54:55]
	v_add_f64 v[141:142], v[2:3], v[142:143]
	v_fma_f64 v[44:45], v[46:47], s[16:17], v[10:11]
	v_fma_f64 v[10:11], v[46:47], s[16:17], -v[10:11]
	v_fma_f64 v[48:49], v[46:47], s[10:11], v[0:1]
	v_fma_f64 v[20:21], v[46:47], s[4:5], v[14:15]
	v_add_f64 v[156:157], v[2:3], v[218:219]
	v_add_f64 v[143:144], v[2:3], v[144:145]
	v_add_f64 v[2:3], v[2:3], v[104:105]
	v_fma_f64 v[14:15], v[46:47], s[4:5], -v[14:15]
	v_fma_f64 v[33:34], v[46:47], s[6:7], v[6:7]
	v_fma_f64 v[6:7], v[46:47], s[6:7], -v[6:7]
	v_fma_f64 v[42:43], v[46:47], s[22:23], v[8:9]
	v_fma_f64 v[8:9], v[46:47], s[22:23], -v[8:9]
	v_fma_f64 v[0:1], v[46:47], s[10:11], -v[0:1]
	v_fma_f64 v[56:57], v[46:47], s[14:15], v[12:13]
	v_fma_f64 v[12:13], v[46:47], s[14:15], -v[12:13]
	v_mul_f64 v[46:47], v[52:53], s[48:49]
	v_add_f64 v[4:5], v[4:5], v[40:41]
	v_mul_f64 v[40:41], v[52:53], s[40:41]
	v_add_f64 v[16:17], v[16:17], v[124:125]
	;; [unrolled: 2-line block ×3, first 2 shown]
	v_mul_f64 v[88:89], v[52:53], s[42:43]
	v_mul_f64 v[52:53], v[52:53], s[38:39]
	v_add_f64 v[18:19], v[44:45], v[18:19]
	v_fma_f64 v[44:45], v[54:55], s[10:11], -v[102:103]
	v_add_f64 v[10:11], v[10:11], v[36:37]
	v_add_f64 v[37:38], v[48:49], v[38:39]
	v_fma_f64 v[48:49], v[54:55], s[6:7], v[58:59]
	v_add_f64 v[20:21], v[20:21], v[126:127]
	v_fma_f64 v[35:36], v[54:55], s[18:19], v[50:51]
	v_add_f64 v[33:34], v[33:34], v[139:140]
	v_add_f64 v[14:15], v[14:15], v[131:132]
	;; [unrolled: 1-line block ×5, first 2 shown]
	v_fma_f64 v[50:51], v[54:55], s[18:19], -v[50:51]
	v_add_f64 v[2:3], v[12:13], v[2:3]
	v_fma_f64 v[27:28], v[54:55], s[16:17], v[46:47]
	v_fma_f64 v[58:59], v[54:55], s[6:7], -v[58:59]
	v_fma_f64 v[12:13], v[54:55], s[14:15], v[40:41]
	v_add_f64 v[29:30], v[56:57], v[29:30]
	v_fma_f64 v[46:47], v[54:55], s[16:17], -v[46:47]
	v_fma_f64 v[56:57], v[54:55], s[12:13], v[66:67]
	v_fma_f64 v[39:40], v[54:55], s[14:15], -v[40:41]
	v_mul_f64 v[92:93], v[60:61], s[28:29]
	v_fma_f64 v[96:97], v[54:55], s[22:23], v[52:53]
	v_fma_f64 v[52:53], v[54:55], s[22:23], -v[52:53]
	v_add_f64 v[16:17], v[44:45], v[16:17]
	v_mul_f64 v[44:45], v[60:61], s[36:37]
	v_add_f64 v[22:23], v[48:49], v[22:23]
	v_mul_f64 v[48:49], v[60:61], s[38:39]
	v_add_f64 v[8:9], v[8:9], v[143:144]
	v_fma_f64 v[66:67], v[54:55], s[12:13], -v[66:67]
	v_fma_f64 v[90:91], v[54:55], s[4:5], v[88:89]
	v_fma_f64 v[88:89], v[54:55], s[4:5], -v[88:89]
	v_add_f64 v[20:21], v[35:36], v[20:21]
	v_mul_f64 v[35:36], v[60:61], s[50:51]
	v_mul_f64 v[94:95], v[60:61], s[48:49]
	v_add_f64 v[14:15], v[50:51], v[14:15]
	v_add_f64 v[27:28], v[27:28], v[33:34]
	v_mul_f64 v[33:34], v[60:61], s[44:45]
	v_add_f64 v[12:13], v[12:13], v[18:19]
	v_fma_f64 v[18:19], v[64:65], s[4:5], -v[137:138]
	v_add_f64 v[4:5], v[58:59], v[4:5]
	v_add_f64 v[6:7], v[46:47], v[6:7]
	v_add_f64 v[41:42], v[56:57], v[42:43]
	v_mul_f64 v[46:47], v[60:61], s[30:31]
	v_add_f64 v[10:11], v[39:40], v[10:11]
	v_fma_f64 v[39:40], v[64:65], s[6:7], v[92:93]
	v_fma_f64 v[50:51], v[64:65], s[6:7], -v[92:93]
	v_fma_f64 v[58:59], v[64:65], s[14:15], v[44:45]
	v_fma_f64 v[43:44], v[64:65], s[14:15], -v[44:45]
	v_add_f64 v[2:3], v[52:53], v[2:3]
	v_fma_f64 v[52:53], v[64:65], s[22:23], v[48:49]
	v_add_f64 v[8:9], v[66:67], v[8:9]
	v_fma_f64 v[48:49], v[64:65], s[22:23], -v[48:49]
	v_add_f64 v[0:1], v[88:89], v[0:1]
	v_mul_f64 v[88:89], v[86:87], s[52:53]
	v_fma_f64 v[60:61], v[64:65], s[10:11], v[35:36]
	v_fma_f64 v[35:36], v[64:65], s[10:11], -v[35:36]
	v_fma_f64 v[54:55], v[64:65], s[16:17], v[94:95]
	v_add_f64 v[37:38], v[90:91], v[37:38]
	v_fma_f64 v[66:67], v[64:65], s[18:19], v[33:34]
	v_fma_f64 v[33:34], v[64:65], s[18:19], -v[33:34]
	v_add_f64 v[16:17], v[18:19], v[16:17]
	v_mul_f64 v[18:19], v[86:87], s[50:51]
	v_fma_f64 v[56:57], v[64:65], s[16:17], -v[94:95]
	v_mul_f64 v[90:91], v[86:87], s[30:31]
	v_fma_f64 v[92:93], v[64:65], s[12:13], v[46:47]
	v_fma_f64 v[45:46], v[64:65], s[12:13], -v[46:47]
	v_add_f64 v[20:21], v[39:40], v[20:21]
	v_add_f64 v[14:15], v[50:51], v[14:15]
	v_mul_f64 v[39:40], v[86:87], s[28:29]
	v_mul_f64 v[50:51], v[86:87], s[20:21]
	v_add_f64 v[6:7], v[43:44], v[6:7]
	v_mul_f64 v[43:44], v[86:87], s[40:41]
	v_add_f64 v[12:13], v[52:53], v[12:13]
	v_fma_f64 v[52:53], v[84:85], s[16:17], -v[112:113]
	v_add_f64 v[10:11], v[48:49], v[10:11]
	v_fma_f64 v[47:48], v[84:85], s[22:23], v[88:89]
	v_add_f64 v[27:28], v[58:59], v[27:28]
	v_add_f64 v[8:9], v[35:36], v[8:9]
	v_mul_f64 v[35:36], v[86:87], s[34:35]
	v_add_f64 v[29:30], v[96:97], v[29:30]
	v_add_f64 v[22:23], v[54:55], v[22:23]
	;; [unrolled: 1-line block ×4, first 2 shown]
	v_fma_f64 v[33:34], v[84:85], s[10:11], v[18:19]
	v_add_f64 v[4:5], v[56:57], v[4:5]
	v_fma_f64 v[54:55], v[84:85], s[22:23], -v[88:89]
	v_fma_f64 v[56:57], v[84:85], s[12:13], v[90:91]
	v_add_f64 v[37:38], v[66:67], v[37:38]
	v_fma_f64 v[58:59], v[84:85], s[12:13], -v[90:91]
	v_fma_f64 v[18:19], v[84:85], s[10:11], -v[18:19]
	v_add_f64 v[2:3], v[45:46], v[2:3]
	v_fma_f64 v[45:46], v[84:85], s[6:7], v[39:40]
	v_fma_f64 v[39:40], v[84:85], s[6:7], -v[39:40]
	v_fma_f64 v[60:61], v[84:85], s[4:5], v[50:51]
	v_mul_f64 v[63:64], v[82:83], s[48:49]
	v_fma_f64 v[49:50], v[84:85], s[4:5], -v[50:51]
	v_fma_f64 v[65:66], v[84:85], s[14:15], v[43:44]
	v_fma_f64 v[43:44], v[84:85], s[14:15], -v[43:44]
	v_mul_f64 v[86:87], v[82:83], s[40:41]
	v_add_f64 v[16:17], v[52:53], v[16:17]
	v_mul_f64 v[51:52], v[82:83], s[38:39]
	v_fma_f64 v[88:89], v[84:85], s[18:19], v[35:36]
	v_fma_f64 v[35:36], v[84:85], s[18:19], -v[35:36]
	v_add_f64 v[20:21], v[47:48], v[20:21]
	v_mul_f64 v[47:48], v[82:83], s[20:21]
	v_add_f64 v[27:28], v[33:34], v[27:28]
	v_mul_f64 v[33:34], v[82:83], s[28:29]
	v_add_f64 v[29:30], v[92:93], v[29:30]
	v_add_f64 v[14:15], v[54:55], v[14:15]
	;; [unrolled: 1-line block ×4, first 2 shown]
	v_mul_f64 v[53:54], v[82:83], s[46:47]
	v_add_f64 v[6:7], v[18:19], v[6:7]
	v_mul_f64 v[18:19], v[82:83], s[26:27]
	v_add_f64 v[41:42], v[45:46], v[41:42]
	v_add_f64 v[8:9], v[39:40], v[8:9]
	v_fma_f64 v[39:40], v[80:81], s[18:19], -v[98:99]
	v_fma_f64 v[45:46], v[80:81], s[16:17], v[63:64]
	v_fma_f64 v[55:56], v[80:81], s[16:17], -v[63:64]
	v_add_f64 v[10:11], v[49:50], v[10:11]
	v_fma_f64 v[49:50], v[80:81], s[14:15], v[86:87]
	v_fma_f64 v[57:58], v[80:81], s[14:15], -v[86:87]
	v_add_f64 v[0:1], v[43:44], v[0:1]
	v_fma_f64 v[43:44], v[80:81], s[22:23], v[51:52]
	v_add_f64 v[2:3], v[35:36], v[2:3]
	v_fma_f64 v[35:36], v[80:81], s[22:23], -v[51:52]
	v_fma_f64 v[51:52], v[80:81], s[4:5], v[47:48]
	v_mul_f64 v[82:83], v[74:75], s[26:27]
	v_fma_f64 v[63:64], v[80:81], s[6:7], v[33:34]
	v_fma_f64 v[33:34], v[80:81], s[6:7], -v[33:34]
	v_add_f64 v[12:13], v[60:61], v[12:13]
	v_add_f64 v[37:38], v[65:66], v[37:38]
	;; [unrolled: 1-line block ×3, first 2 shown]
	v_fma_f64 v[47:48], v[80:81], s[4:5], -v[47:48]
	v_fma_f64 v[59:60], v[80:81], s[12:13], v[53:54]
	v_fma_f64 v[53:54], v[80:81], s[12:13], -v[53:54]
	v_fma_f64 v[65:66], v[80:81], s[10:11], v[18:19]
	v_fma_f64 v[18:19], v[80:81], s[10:11], -v[18:19]
	v_add_f64 v[16:17], v[39:40], v[16:17]
	v_add_f64 v[20:21], v[45:46], v[20:21]
	v_mul_f64 v[39:40], v[74:75], s[42:43]
	v_add_f64 v[14:15], v[55:56], v[14:15]
	v_mul_f64 v[45:46], v[74:75], s[44:45]
	;; [unrolled: 2-line block ×5, first 2 shown]
	v_mul_f64 v[57:58], v[74:75], s[24:25]
	v_add_f64 v[6:7], v[35:36], v[6:7]
	v_add_f64 v[35:36], v[51:52], v[41:42]
	v_fma_f64 v[41:42], v[72:73], s[22:23], -v[133:134]
	v_add_f64 v[0:1], v[33:34], v[0:1]
	v_fma_f64 v[33:34], v[72:73], s[10:11], v[82:83]
	v_add_f64 v[8:9], v[47:48], v[8:9]
	v_add_f64 v[12:13], v[59:60], v[12:13]
	;; [unrolled: 1-line block ×6, first 2 shown]
	v_fma_f64 v[18:19], v[72:73], s[10:11], -v[82:83]
	v_fma_f64 v[47:48], v[72:73], s[4:5], v[39:40]
	v_fma_f64 v[39:40], v[72:73], s[4:5], -v[39:40]
	v_fma_f64 v[51:52], v[72:73], s[18:19], v[45:46]
	;; [unrolled: 2-line block ×5, first 2 shown]
	v_fma_f64 v[65:66], v[72:73], s[16:17], v[57:58]
	v_fma_f64 v[57:58], v[72:73], s[16:17], -v[57:58]
	v_mul_f64 v[74:75], v[70:71], s[36:37]
	v_fma_f64 v[43:44], v[72:73], s[12:13], -v[43:44]
	v_mul_f64 v[72:73], v[70:71], s[38:39]
	v_mul_f64 v[80:81], v[70:71], s[30:31]
	v_add_f64 v[16:17], v[41:42], v[16:17]
	v_mul_f64 v[41:42], v[70:71], s[34:35]
	v_mul_f64 v[82:83], v[70:71], s[26:27]
	v_add_f64 v[20:21], v[33:34], v[20:21]
	;; [unrolled: 3-line block ×3, first 2 shown]
	v_add_f64 v[18:19], v[47:48], v[22:23]
	v_add_f64 v[4:5], v[39:40], v[4:5]
	;; [unrolled: 1-line block ×11, first 2 shown]
	v_fma_f64 v[47:48], v[68:69], s[14:15], v[74:75]
	v_fma_f64 v[49:50], v[68:69], s[14:15], -v[74:75]
	v_fma_f64 v[51:52], v[68:69], s[22:23], v[72:73]
	v_fma_f64 v[53:54], v[68:69], s[12:13], v[80:81]
	v_fma_f64 v[55:56], v[68:69], s[12:13], -v[80:81]
	v_fma_f64 v[57:58], v[68:69], s[18:19], v[41:42]
	;; [unrolled: 3-line block ×3, first 2 shown]
	v_fma_f64 v[74:75], v[68:69], s[4:5], v[70:71]
	v_fma_f64 v[70:71], v[68:69], s[4:5], -v[70:71]
	v_add_f64 v[43:44], v[43:44], v[0:1]
	v_fma_f64 v[33:34], v[68:69], s[16:17], -v[33:34]
	v_fma_f64 v[41:42], v[68:69], s[18:19], -v[41:42]
	;; [unrolled: 1-line block ×4, first 2 shown]
	v_add_nc_u32_e32 v129, 0x1000, v77
	v_add_nc_u32_e32 v100, 0x2800, v77
	;; [unrolled: 1-line block ×6, first 2 shown]
	v_add_f64 v[47:48], v[47:48], v[20:21]
	v_add_f64 v[49:50], v[49:50], v[14:15]
	;; [unrolled: 1-line block ×6, first 2 shown]
	v_and_b32_e32 v6, 0xff, v76
	v_add_f64 v[57:58], v[59:60], v[12:13]
	v_add_f64 v[37:38], v[65:66], v[37:38]
	v_add_f64 v[29:30], v[74:75], v[29:30]
	v_add_f64 v[45:46], v[70:71], v[45:46]
	v_mul_lo_u16 v59, 0xf1, v6
	v_add_f64 v[33:34], v[33:34], v[43:44]
	v_add_f64 v[39:40], v[63:64], v[39:40]
	;; [unrolled: 1-line block ×4, first 2 shown]
	v_lshrrev_b16 v131, 12, v59
	v_add_f64 v[41:42], v[72:73], v[4:5]
	v_add_nc_u32_e32 v106, 0x2400, v77
	s_waitcnt lgkmcnt(0)
	s_barrier
	v_mul_lo_u16 v59, v131, 17
	buffer_gl0_inv
	ds_read_b64 v[92:93], v77 offset:13056
	ds_read2_b64 v[0:3], v77 offset1:102
	ds_read2_b64 v[88:91], v62 offset0:76 offset1:178
	ds_read2_b64 v[8:11], v128 offset0:152 offset1:254
	ds_read2_b64 v[12:15], v129 offset0:100 offset1:202
	ds_read2_b64 v[4:7], v130 offset0:48 offset1:150
	ds_read2_b64 v[16:19], v116 offset0:124 offset1:226
	ds_read2_b64 v[20:23], v106 offset0:72 offset1:174
	ds_read2_b64 v[102:105], v100 offset0:148 offset1:250
	s_waitcnt lgkmcnt(0)
	s_barrier
	buffer_gl0_inv
	ds_write2_b64 v24, v[31:32], v[25:26] offset1:1
	ds_write2_b64 v24, v[47:48], v[51:52] offset0:2 offset1:3
	ds_write2_b64 v24, v[53:54], v[27:28] offset0:4 offset1:5
	;; [unrolled: 1-line block ×3, first 2 shown]
	v_sub_nc_u16 v132, v76, v59
	v_mov_b32_e32 v25, 8
	ds_write2_b64 v24, v[29:30], v[45:46] offset0:8 offset1:9
	ds_write2_b64 v24, v[33:34], v[39:40] offset0:10 offset1:11
	;; [unrolled: 1-line block ×4, first 2 shown]
	v_lshlrev_b32_sdwa v25, v25, v132 dst_sel:DWORD dst_unused:UNUSED_PAD src0_sel:DWORD src1_sel:BYTE_0
	ds_write_b64 v24, v[43:44] offset:128
	s_waitcnt lgkmcnt(0)
	s_barrier
	buffer_gl0_inv
	s_clause 0xf
	global_load_dwordx4 v[68:71], v25, s[8:9] offset:240
	global_load_dwordx4 v[72:75], v25, s[8:9]
	global_load_dwordx4 v[82:85], v25, s[8:9] offset:16
	global_load_dwordx4 v[112:115], v25, s[8:9] offset:224
	;; [unrolled: 1-line block ×14, first 2 shown]
	ds_read_b64 v[86:87], v77 offset:13056
	ds_read2_b64 v[24:27], v77 offset1:102
	ds_read2_b64 v[60:63], v62 offset0:76 offset1:178
	ds_read2_b64 v[137:140], v100 offset0:148 offset1:250
	v_cmp_gt_u32_e64 s0, 0x55, v76
	s_waitcnt vmcnt(15)
	v_mul_f64 v[80:81], v[92:93], v[70:71]
	s_waitcnt vmcnt(14)
	v_mul_f64 v[94:95], v[2:3], v[74:75]
	;; [unrolled: 2-line block ×3, first 2 shown]
	s_waitcnt lgkmcnt(3)
	v_mul_f64 v[70:71], v[86:87], v[70:71]
	s_waitcnt lgkmcnt(2)
	v_mul_f64 v[74:75], v[26:27], v[74:75]
	;; [unrolled: 2-line block ×3, first 2 shown]
	s_waitcnt vmcnt(1)
	v_mul_f64 v[185:186], v[4:5], v[34:35]
	s_waitcnt vmcnt(0)
	v_mul_f64 v[195:196], v[6:7], v[30:31]
	v_fma_f64 v[80:81], v[86:87], v[68:69], v[80:81]
	v_fma_f64 v[96:97], v[26:27], v[72:73], v[94:95]
	v_mul_f64 v[26:27], v[104:105], v[114:115]
	v_fma_f64 v[86:87], v[60:61], v[82:83], v[98:99]
	v_fma_f64 v[98:99], v[92:93], v[68:69], -v[70:71]
	v_fma_f64 v[100:101], v[2:3], v[72:73], -v[74:75]
	s_waitcnt lgkmcnt(0)
	v_mul_f64 v[60:61], v[139:140], v[114:115]
	v_mul_f64 v[68:69], v[90:91], v[119:120]
	;; [unrolled: 1-line block ×3, first 2 shown]
	v_fma_f64 v[92:93], v[88:89], v[82:83], -v[84:85]
	ds_read2_b64 v[72:75], v106 offset0:72 offset1:174
	v_add_f64 v[108:109], v[96:97], -v[80:81]
	v_fma_f64 v[26:27], v[139:140], v[112:113], v[26:27]
	v_mul_f64 v[139:140], v[20:21], v[58:59]
	v_add_f64 v[2:3], v[100:101], v[98:99]
	v_fma_f64 v[94:95], v[104:105], v[112:113], -v[60:61]
	v_mul_f64 v[60:61], v[62:63], v[119:120]
	v_fma_f64 v[84:85], v[62:63], v[117:118], v[68:69]
	v_mul_f64 v[62:63], v[137:138], v[123:124]
	v_fma_f64 v[82:83], v[137:138], v[121:122], v[70:71]
	v_mul_f64 v[112:113], v[8:9], v[135:136]
	ds_read2_b64 v[68:71], v128 offset0:152 offset1:254
	v_mul_f64 v[119:120], v[22:23], v[66:67]
	s_waitcnt lgkmcnt(1)
	v_mul_f64 v[58:59], v[72:73], v[58:59]
	v_mul_f64 v[110:111], v[108:109], s[46:47]
	v_add_f64 v[114:115], v[86:87], -v[26:27]
	v_mul_f64 v[126:127], v[108:109], s[50:51]
	v_mul_f64 v[145:146], v[108:109], s[40:41]
	;; [unrolled: 1-line block ×3, first 2 shown]
	v_add_f64 v[104:105], v[92:93], v[94:95]
	v_fma_f64 v[88:89], v[90:91], v[117:118], -v[60:61]
	v_mul_f64 v[117:118], v[74:75], v[66:67]
	v_fma_f64 v[90:91], v[102:103], v[121:122], -v[62:63]
	s_waitcnt lgkmcnt(0)
	v_mul_f64 v[102:103], v[68:69], v[135:136]
	v_add_f64 v[124:125], v[84:85], -v[82:83]
	v_fma_f64 v[68:69], v[68:69], v[133:134], v[112:113]
	v_fma_f64 v[66:67], v[74:75], v[64:65], v[119:120]
	v_mul_f64 v[135:136], v[10:11], v[54:55]
	ds_read2_b64 v[60:63], v129 offset0:100 offset1:202
	v_mul_f64 v[54:55], v[70:71], v[54:55]
	v_mul_f64 v[189:190], v[108:109], s[34:35]
	v_fma_f64 v[137:138], v[2:3], s[12:13], -v[110:111]
	v_mul_f64 v[106:107], v[114:115], s[42:43]
	v_fma_f64 v[143:144], v[2:3], s[10:11], -v[126:127]
	;; [unrolled: 2-line block ×3, first 2 shown]
	v_mul_f64 v[153:154], v[114:115], s[46:47]
	v_mul_f64 v[163:164], v[114:115], s[28:29]
	;; [unrolled: 1-line block ×3, first 2 shown]
	v_add_f64 v[112:113], v[88:89], v[90:91]
	v_fma_f64 v[74:75], v[8:9], v[133:134], -v[102:103]
	v_add_f64 v[8:9], v[0:1], v[100:101]
	v_mul_f64 v[120:121], v[124:125], s[34:35]
	v_fma_f64 v[102:103], v[22:23], v[64:65], -v[117:118]
	v_add_f64 v[22:23], v[68:69], -v[66:67]
	v_fma_f64 v[64:65], v[70:71], v[52:53], v[135:136]
	v_fma_f64 v[70:71], v[72:73], v[56:57], v[139:140]
	v_mul_f64 v[72:73], v[12:13], v[50:51]
	v_mul_f64 v[139:140], v[18:19], v[46:47]
	ds_read2_b64 v[133:136], v116 offset0:124 offset1:226
	s_waitcnt lgkmcnt(1)
	v_mul_f64 v[50:51], v[60:61], v[50:51]
	v_mul_f64 v[149:150], v[124:125], s[54:55]
	v_fma_f64 v[116:117], v[10:11], v[52:53], -v[54:55]
	v_add_f64 v[137:138], v[0:1], v[137:138]
	v_fma_f64 v[141:142], v[104:105], s[4:5], -v[106:107]
	v_fma_f64 v[118:119], v[20:21], v[56:57], -v[58:59]
	v_mul_f64 v[52:53], v[14:15], v[38:39]
	v_mul_f64 v[54:55], v[16:17], v[42:43]
	v_add_f64 v[56:57], v[0:1], v[151:152]
	v_fma_f64 v[58:59], v[104:105], s[12:13], -v[153:154]
	v_fma_f64 v[177:178], v[104:105], s[6:7], -v[163:164]
	;; [unrolled: 1-line block ×3, first 2 shown]
	v_mul_f64 v[181:182], v[124:125], s[48:49]
	v_add_f64 v[8:9], v[8:9], v[92:93]
	v_fma_f64 v[147:148], v[112:113], s[18:19], -v[120:121]
	v_add_f64 v[155:156], v[74:75], v[102:103]
	v_mul_f64 v[157:158], v[22:23], s[28:29]
	v_mul_f64 v[183:184], v[124:125], s[30:31]
	v_add_f64 v[20:21], v[64:65], -v[70:71]
	v_fma_f64 v[60:61], v[60:61], v[48:49], v[72:73]
	s_waitcnt lgkmcnt(0)
	v_mul_f64 v[10:11], v[135:136], v[46:47]
	v_fma_f64 v[46:47], v[135:136], v[44:45], v[139:140]
	v_fma_f64 v[72:73], v[12:13], v[48:49], -v[50:51]
	v_fma_f64 v[50:51], v[112:113], s[6:7], -v[149:150]
	v_mul_f64 v[139:140], v[22:23], s[48:49]
	v_mul_f64 v[135:136], v[124:125], s[50:51]
	v_add_f64 v[137:138], v[141:142], v[137:138]
	v_add_f64 v[141:142], v[0:1], v[143:144]
	v_fma_f64 v[143:144], v[104:105], s[18:19], -v[122:123]
	v_fma_f64 v[110:111], v[2:3], s[12:13], v[110:111]
	v_fma_f64 v[126:127], v[2:3], s[10:11], v[126:127]
	v_mul_f64 v[205:206], v[124:125], s[42:43]
	v_mul_f64 v[203:204], v[124:125], s[40:41]
	;; [unrolled: 1-line block ×3, first 2 shown]
	v_fma_f64 v[153:154], v[104:105], s[12:13], v[153:154]
	v_add_f64 v[8:9], v[8:9], v[88:89]
	v_fma_f64 v[106:107], v[104:105], s[4:5], v[106:107]
	v_fma_f64 v[122:123], v[104:105], s[18:19], v[122:123]
	v_mul_f64 v[211:212], v[22:23], s[38:39]
	v_mul_f64 v[213:214], v[22:23], s[44:45]
	;; [unrolled: 1-line block ×4, first 2 shown]
	v_fma_f64 v[44:45], v[18:19], v[44:45], -v[10:11]
	v_add_f64 v[18:19], v[60:61], -v[46:47]
	v_mul_f64 v[10:11], v[133:134], v[42:43]
	v_fma_f64 v[42:43], v[133:134], v[40:41], v[54:55]
	v_mul_f64 v[54:55], v[108:109], s[24:25]
	v_fma_f64 v[133:134], v[155:156], s[16:17], -v[139:140]
	v_add_f64 v[48:49], v[147:148], v[137:138]
	v_fma_f64 v[137:138], v[155:156], s[6:7], -v[157:158]
	v_add_f64 v[12:13], v[143:144], v[141:142]
	v_add_f64 v[141:142], v[116:117], v[118:119]
	v_mul_f64 v[143:144], v[20:21], s[52:53]
	v_mul_f64 v[147:148], v[62:63], v[38:39]
	v_fma_f64 v[38:39], v[62:63], v[36:37], v[52:53]
	v_mul_f64 v[52:53], v[108:109], s[42:43]
	v_mul_f64 v[62:63], v[22:23], s[42:43]
	;; [unrolled: 1-line block ×3, first 2 shown]
	v_add_f64 v[110:111], v[0:1], v[110:111]
	v_add_f64 v[126:127], v[0:1], v[126:127]
	v_fma_f64 v[139:140], v[155:156], s[16:17], v[139:140]
	v_add_f64 v[159:160], v[72:73], v[44:45]
	v_mul_f64 v[161:162], v[18:19], s[48:49]
	v_fma_f64 v[40:41], v[16:17], v[40:41], -v[10:11]
	v_mul_f64 v[169:170], v[18:19], s[40:41]
	v_mul_f64 v[193:194], v[18:19], s[34:35]
	;; [unrolled: 1-line block ×3, first 2 shown]
	v_add_f64 v[48:49], v[137:138], v[48:49]
	v_add_f64 v[12:13], v[50:51], v[12:13]
	;; [unrolled: 1-line block ×4, first 2 shown]
	v_fma_f64 v[137:138], v[141:142], s[22:23], -v[143:144]
	v_fma_f64 v[36:37], v[14:15], v[36:37], -v[147:148]
	v_add_f64 v[14:15], v[38:39], -v[42:43]
	v_fma_f64 v[16:17], v[2:3], s[4:5], -v[52:53]
	v_fma_f64 v[147:148], v[2:3], s[16:17], -v[54:55]
	ds_read2_b64 v[8:11], v130 offset0:48 offset1:150
	v_fma_f64 v[58:59], v[112:113], s[10:11], -v[135:136]
	v_fma_f64 v[207:208], v[2:3], s[6:7], -v[108:109]
	v_fma_f64 v[108:109], v[2:3], s[6:7], v[108:109]
	v_fma_f64 v[52:53], v[2:3], s[4:5], v[52:53]
	;; [unrolled: 1-line block ×5, first 2 shown]
	s_waitcnt lgkmcnt(0)
	s_barrier
	buffer_gl0_inv
	v_add_f64 v[12:13], v[133:134], v[12:13]
	v_fma_f64 v[133:134], v[141:142], s[12:13], -v[151:152]
	v_add_f64 v[56:57], v[56:57], v[116:117]
	v_add_f64 v[48:49], v[137:138], v[48:49]
	v_fma_f64 v[137:138], v[159:160], s[16:17], -v[161:162]
	v_add_f64 v[171:172], v[36:37], v[40:41]
	v_mul_f64 v[173:174], v[14:15], s[26:27]
	v_mul_f64 v[175:176], v[8:9], v[34:35]
	v_add_f64 v[16:17], v[0:1], v[16:17]
	v_add_f64 v[147:148], v[0:1], v[147:148]
	;; [unrolled: 1-line block ×3, first 2 shown]
	v_fma_f64 v[58:59], v[155:156], s[4:5], -v[62:63]
	v_mul_f64 v[187:188], v[10:11], v[30:31]
	v_fma_f64 v[30:31], v[8:9], v[32:33], v[185:186]
	v_mul_f64 v[185:186], v[114:115], s[48:49]
	v_mul_f64 v[197:198], v[14:15], s[42:43]
	;; [unrolled: 1-line block ×3, first 2 shown]
	v_add_f64 v[108:109], v[0:1], v[108:109]
	v_add_f64 v[207:208], v[0:1], v[207:208]
	;; [unrolled: 1-line block ×3, first 2 shown]
	v_fma_f64 v[151:152], v[141:142], s[12:13], v[151:152]
	v_add_f64 v[12:13], v[133:134], v[12:13]
	v_add_f64 v[56:57], v[56:57], v[72:73]
	v_fma_f64 v[133:134], v[159:160], s[14:15], -v[169:170]
	v_add_f64 v[48:49], v[137:138], v[48:49]
	v_fma_f64 v[137:138], v[171:172], s[10:11], -v[173:174]
	v_fma_f64 v[34:35], v[4:5], v[32:33], -v[175:176]
	v_add_f64 v[4:5], v[177:178], v[16:17]
	v_add_f64 v[16:17], v[179:180], v[147:148]
	v_fma_f64 v[147:148], v[112:113], s[16:17], -v[181:182]
	v_mul_f64 v[177:178], v[22:23], s[36:37]
	v_add_f64 v[50:51], v[58:59], v[50:51]
	v_fma_f64 v[58:59], v[141:142], s[16:17], -v[167:168]
	v_fma_f64 v[175:176], v[112:113], s[12:13], -v[183:184]
	v_mul_f64 v[179:180], v[22:23], s[50:51]
	v_fma_f64 v[32:33], v[6:7], v[28:29], -v[187:188]
	v_mul_f64 v[187:188], v[114:115], s[26:27]
	v_fma_f64 v[28:29], v[10:11], v[28:29], v[195:196]
	v_mul_f64 v[114:115], v[114:115], s[36:37]
	v_fma_f64 v[6:7], v[2:3], s[18:19], -v[189:190]
	v_fma_f64 v[189:190], v[2:3], s[18:19], v[189:190]
	v_fma_f64 v[195:196], v[104:105], s[16:17], -v[185:186]
	v_fma_f64 v[185:186], v[104:105], s[16:17], v[185:186]
	v_add_f64 v[8:9], v[56:57], v[36:37]
	v_fma_f64 v[56:57], v[2:3], s[22:23], -v[191:192]
	v_add_f64 v[10:11], v[133:134], v[12:13]
	v_fma_f64 v[133:134], v[2:3], s[14:15], v[145:146]
	v_add_f64 v[12:13], v[137:138], v[48:49]
	v_fma_f64 v[2:3], v[2:3], s[22:23], v[191:192]
	v_mul_f64 v[191:192], v[18:19], s[38:39]
	v_fma_f64 v[48:49], v[171:172], s[4:5], -v[197:198]
	v_add_f64 v[4:5], v[147:148], v[4:5]
	v_fma_f64 v[137:138], v[155:156], s[14:15], -v[177:178]
	v_mul_f64 v[147:148], v[20:21], s[50:51]
	v_add_f64 v[50:51], v[58:59], v[50:51]
	v_fma_f64 v[58:59], v[159:160], s[18:19], -v[193:194]
	v_add_f64 v[16:17], v[175:176], v[16:17]
	v_fma_f64 v[145:146], v[155:156], s[10:11], -v[179:180]
	v_mul_f64 v[175:176], v[20:21], s[28:29]
	v_fma_f64 v[201:202], v[104:105], s[10:11], -v[187:188]
	v_fma_f64 v[215:216], v[104:105], s[14:15], -v[114:115]
	v_fma_f64 v[114:115], v[104:105], s[14:15], v[114:115]
	v_add_f64 v[6:7], v[0:1], v[6:7]
	v_add_f64 v[189:190], v[0:1], v[189:190]
	v_fma_f64 v[187:188], v[104:105], s[10:11], v[187:188]
	v_add_f64 v[8:9], v[8:9], v[34:35]
	v_add_f64 v[56:57], v[0:1], v[56:57]
	v_mul_f64 v[22:23], v[22:23], s[30:31]
	v_add_f64 v[133:134], v[0:1], v[133:134]
	v_add_f64 v[2:3], v[0:1], v[2:3]
	;; [unrolled: 1-line block ×3, first 2 shown]
	v_fma_f64 v[54:55], v[159:160], s[22:23], -v[191:192]
	v_add_f64 v[10:11], v[48:49], v[10:11]
	v_add_f64 v[4:5], v[137:138], v[4:5]
	v_fma_f64 v[137:138], v[141:142], s[10:11], -v[147:148]
	v_fma_f64 v[147:148], v[141:142], s[10:11], v[147:148]
	v_add_f64 v[50:51], v[58:59], v[50:51]
	v_fma_f64 v[58:59], v[171:172], s[22:23], -v[199:200]
	v_add_f64 v[16:17], v[145:146], v[16:17]
	v_fma_f64 v[145:146], v[141:142], s[6:7], -v[175:176]
	v_add_f64 v[108:109], v[114:115], v[108:109]
	v_fma_f64 v[114:115], v[104:105], s[6:7], v[163:164]
	v_fma_f64 v[104:105], v[104:105], s[22:23], v[165:166]
	v_add_f64 v[6:7], v[195:196], v[6:7]
	v_add_f64 v[8:9], v[8:9], v[32:33]
	;; [unrolled: 1-line block ×3, first 2 shown]
	v_fma_f64 v[201:202], v[112:113], s[4:5], -v[205:206]
	v_fma_f64 v[195:196], v[112:113], s[14:15], -v[203:204]
	;; [unrolled: 1-line block ×3, first 2 shown]
	v_fma_f64 v[124:125], v[112:113], s[22:23], v[124:125]
	v_add_f64 v[165:166], v[185:186], v[189:190]
	v_add_f64 v[2:3], v[187:188], v[2:3]
	v_fma_f64 v[185:186], v[112:113], s[14:15], v[203:204]
	v_add_f64 v[133:134], v[153:154], v[133:134]
	v_add_f64 v[4:5], v[137:138], v[4:5]
	v_fma_f64 v[137:138], v[159:160], s[4:5], -v[209:210]
	v_fma_f64 v[153:154], v[112:113], s[4:5], v[205:206]
	v_add_f64 v[48:49], v[58:59], v[50:51]
	v_add_f64 v[50:51], v[106:107], v[110:111]
	;; [unrolled: 1-line block ×4, first 2 shown]
	v_fma_f64 v[106:107], v[112:113], s[6:7], v[149:150]
	v_fma_f64 v[110:111], v[112:113], s[16:17], v[181:182]
	v_add_f64 v[52:53], v[114:115], v[52:53]
	v_add_f64 v[0:1], v[104:105], v[0:1]
	v_fma_f64 v[145:146], v[155:156], s[22:23], -v[211:212]
	v_add_f64 v[8:9], v[8:9], v[40:41]
	v_fma_f64 v[122:123], v[155:156], s[12:13], -v[22:23]
	v_add_f64 v[56:57], v[201:202], v[56:57]
	v_add_f64 v[201:202], v[215:216], v[207:208]
	;; [unrolled: 1-line block ×3, first 2 shown]
	v_fma_f64 v[195:196], v[155:156], s[18:19], -v[213:214]
	v_add_f64 v[108:109], v[124:125], v[108:109]
	v_fma_f64 v[22:23], v[155:156], s[12:13], v[22:23]
	v_mul_f64 v[126:127], v[20:21], s[20:21]
	v_add_f64 v[124:125], v[135:136], v[133:134]
	v_add_f64 v[4:5], v[54:55], v[4:5]
	v_fma_f64 v[54:55], v[112:113], s[18:19], v[120:121]
	v_fma_f64 v[112:113], v[112:113], s[12:13], v[183:184]
	v_add_f64 v[120:121], v[185:186], v[165:166]
	v_add_f64 v[2:3], v[153:154], v[2:3]
	;; [unrolled: 1-line block ×3, first 2 shown]
	v_fma_f64 v[133:134], v[155:156], s[22:23], v[211:212]
	v_mul_f64 v[135:136], v[20:21], s[40:41]
	v_fma_f64 v[137:138], v[155:156], s[18:19], v[213:214]
	v_mul_f64 v[20:21], v[20:21], s[34:35]
	v_add_f64 v[58:59], v[106:107], v[58:59]
	v_add_f64 v[52:53], v[110:111], v[52:53]
	;; [unrolled: 1-line block ×3, first 2 shown]
	v_fma_f64 v[110:111], v[155:156], s[14:15], v[177:178]
	v_fma_f64 v[149:150], v[155:156], s[10:11], v[179:180]
	v_add_f64 v[114:115], v[163:164], v[201:202]
	v_add_f64 v[6:7], v[145:146], v[6:7]
	;; [unrolled: 1-line block ×3, first 2 shown]
	v_add_f64 v[104:105], v[30:31], -v[28:29]
	v_add_f64 v[22:23], v[22:23], v[108:109]
	v_fma_f64 v[108:109], v[141:142], s[4:5], -v[126:127]
	v_fma_f64 v[126:127], v[141:142], s[4:5], v[126:127]
	v_add_f64 v[106:107], v[34:35], v[32:33]
	v_add_f64 v[50:51], v[54:55], v[50:51]
	v_fma_f64 v[54:55], v[155:156], s[4:5], v[62:63]
	v_fma_f64 v[62:63], v[155:156], s[6:7], v[157:158]
	v_add_f64 v[0:1], v[112:113], v[0:1]
	v_fma_f64 v[155:156], v[141:142], s[16:17], v[167:168]
	v_add_f64 v[120:121], v[133:134], v[120:121]
	v_fma_f64 v[133:134], v[141:142], s[14:15], -v[135:136]
	v_add_f64 v[2:3], v[137:138], v[2:3]
	v_mul_f64 v[137:138], v[18:19], s[46:47]
	v_fma_f64 v[135:136], v[141:142], s[14:15], v[135:136]
	v_add_f64 v[58:59], v[139:140], v[58:59]
	v_add_f64 v[8:9], v[8:9], v[118:119]
	;; [unrolled: 1-line block ×3, first 2 shown]
	v_mul_f64 v[110:111], v[14:15], s[40:41]
	v_add_f64 v[114:115], v[122:123], v[114:115]
	v_mul_f64 v[122:123], v[14:15], s[44:45]
	v_mul_f64 v[145:146], v[104:105], s[36:37]
	;; [unrolled: 1-line block ×3, first 2 shown]
	v_add_f64 v[6:7], v[108:109], v[6:7]
	v_mul_f64 v[153:154], v[104:105], s[28:29]
	v_mul_f64 v[163:164], v[104:105], s[34:35]
	;; [unrolled: 1-line block ×3, first 2 shown]
	v_add_f64 v[54:55], v[54:55], v[124:125]
	v_mul_f64 v[124:125], v[18:19], s[28:29]
	v_add_f64 v[50:51], v[62:63], v[50:51]
	v_fma_f64 v[62:63], v[141:142], s[18:19], -v[20:21]
	v_fma_f64 v[20:21], v[141:142], s[18:19], v[20:21]
	v_mul_f64 v[18:19], v[18:19], s[26:27]
	v_add_f64 v[0:1], v[149:150], v[0:1]
	v_fma_f64 v[141:142], v[141:142], s[6:7], v[175:176]
	v_add_f64 v[56:57], v[133:134], v[56:57]
	v_fma_f64 v[133:134], v[159:160], s[12:13], -v[137:138]
	v_add_f64 v[8:9], v[8:9], v[102:103]
	v_add_f64 v[120:121], v[126:127], v[120:121]
	v_mul_f64 v[126:127], v[14:15], s[30:31]
	v_add_f64 v[2:3], v[135:136], v[2:3]
	v_fma_f64 v[137:138], v[159:160], s[12:13], v[137:138]
	v_add_f64 v[58:59], v[151:152], v[58:59]
	v_add_f64 v[52:53], v[147:148], v[52:53]
	v_fma_f64 v[147:148], v[159:160], s[14:15], v[169:170]
	v_fma_f64 v[151:152], v[159:160], s[22:23], v[191:192]
	v_fma_f64 v[108:109], v[171:172], s[18:19], -v[122:123]
	v_fma_f64 v[135:136], v[171:172], s[14:15], -v[110:111]
	v_mul_f64 v[167:168], v[104:105], s[24:25]
	v_add_f64 v[54:55], v[155:156], v[54:55]
	v_fma_f64 v[122:123], v[171:172], s[18:19], v[122:123]
	v_add_f64 v[50:51], v[143:144], v[50:51]
	v_add_f64 v[62:63], v[62:63], v[114:115]
	v_fma_f64 v[114:115], v[159:160], s[6:7], -v[124:125]
	v_add_f64 v[20:21], v[20:21], v[22:23]
	v_mul_f64 v[22:23], v[14:15], s[28:29]
	v_fma_f64 v[155:156], v[159:160], s[10:11], -v[18:19]
	v_fma_f64 v[18:19], v[159:160], s[10:11], v[18:19]
	v_mul_f64 v[14:15], v[14:15], s[24:25]
	v_fma_f64 v[124:125], v[159:160], s[6:7], v[124:125]
	v_add_f64 v[0:1], v[141:142], v[0:1]
	v_fma_f64 v[141:142], v[159:160], s[18:19], v[193:194]
	v_fma_f64 v[143:144], v[159:160], s[16:17], v[161:162]
	;; [unrolled: 1-line block ×3, first 2 shown]
	v_add_f64 v[8:9], v[8:9], v[90:91]
	v_mul_f64 v[161:162], v[104:105], s[30:31]
	v_add_f64 v[6:7], v[133:134], v[6:7]
	v_fma_f64 v[133:134], v[171:172], s[12:13], -v[126:127]
	v_mul_f64 v[104:105], v[104:105], s[20:21]
	v_add_f64 v[120:121], v[137:138], v[120:121]
	v_add_f64 v[52:53], v[151:152], v[52:53]
	v_fma_f64 v[137:138], v[171:172], s[10:11], v[173:174]
	v_fma_f64 v[110:111], v[171:172], s[14:15], v[110:111]
	v_add_f64 v[58:59], v[147:148], v[58:59]
	v_fma_f64 v[139:140], v[106:107], s[14:15], -v[145:146]
	v_add_f64 v[56:57], v[114:115], v[56:57]
	v_fma_f64 v[149:150], v[106:107], s[22:23], -v[112:113]
	v_fma_f64 v[114:115], v[171:172], s[6:7], -v[22:23]
	v_add_f64 v[62:63], v[155:156], v[62:63]
	v_add_f64 v[18:19], v[18:19], v[20:21]
	v_fma_f64 v[20:21], v[171:172], s[16:17], -v[14:15]
	v_fma_f64 v[14:15], v[171:172], s[16:17], v[14:15]
	v_add_f64 v[2:3], v[124:125], v[2:3]
	v_fma_f64 v[22:23], v[171:172], s[6:7], v[22:23]
	v_fma_f64 v[124:125], v[171:172], s[12:13], v[126:127]
	v_add_f64 v[54:55], v[141:142], v[54:55]
	v_add_f64 v[50:51], v[143:144], v[50:51]
	;; [unrolled: 1-line block ×3, first 2 shown]
	v_fma_f64 v[126:127], v[171:172], s[22:23], v[199:200]
	v_fma_f64 v[141:142], v[171:172], s[4:5], v[197:198]
	v_fma_f64 v[157:158], v[106:107], s[6:7], -v[153:154]
	v_add_f64 v[8:9], v[8:9], v[94:95]
	v_add_f64 v[4:5], v[108:109], v[4:5]
	;; [unrolled: 1-line block ×3, first 2 shown]
	v_fma_f64 v[108:109], v[106:107], s[12:13], -v[161:162]
	v_fma_f64 v[135:136], v[106:107], s[18:19], -v[163:164]
	v_add_f64 v[52:53], v[122:123], v[52:53]
	v_add_f64 v[56:57], v[133:134], v[56:57]
	v_fma_f64 v[133:134], v[106:107], s[16:17], -v[167:168]
	v_add_f64 v[6:7], v[114:115], v[6:7]
	v_fma_f64 v[114:115], v[106:107], s[10:11], -v[165:166]
	v_fma_f64 v[122:123], v[106:107], s[18:19], v[163:164]
	v_add_f64 v[20:21], v[20:21], v[62:63]
	v_add_f64 v[14:15], v[14:15], v[18:19]
	v_fma_f64 v[18:19], v[106:107], s[4:5], -v[104:105]
	v_fma_f64 v[62:63], v[106:107], s[4:5], v[104:105]
	v_add_f64 v[22:23], v[22:23], v[120:121]
	v_add_f64 v[2:3], v[124:125], v[2:3]
	v_fma_f64 v[104:105], v[106:107], s[10:11], v[165:166]
	v_fma_f64 v[120:121], v[106:107], s[16:17], v[167:168]
	v_add_f64 v[124:125], v[126:127], v[54:55]
	v_add_f64 v[50:51], v[137:138], v[50:51]
	;; [unrolled: 1-line block ×3, first 2 shown]
	v_fma_f64 v[54:55], v[106:107], s[14:15], v[145:146]
	v_fma_f64 v[110:111], v[106:107], s[12:13], v[161:162]
	v_add_f64 v[58:59], v[141:142], v[58:59]
	v_fma_f64 v[112:113], v[106:107], s[22:23], v[112:113]
	v_fma_f64 v[106:107], v[106:107], s[6:7], v[153:154]
	v_add_f64 v[12:13], v[139:140], v[12:13]
	v_add_f64 v[10:11], v[149:150], v[10:11]
	;; [unrolled: 1-line block ×10, first 2 shown]
	v_mov_b32_e32 v137, 0x908
	v_mov_b32_e32 v138, 3
	v_add_f64 v[20:21], v[104:105], v[22:23]
	v_add_f64 v[2:3], v[120:121], v[2:3]
	v_add_nc_u32_e32 v105, 0x2000, v77
	v_add_f64 v[48:49], v[122:123], v[0:1]
	v_add_f64 v[56:57], v[54:55], v[50:51]
	;; [unrolled: 1-line block ×3, first 2 shown]
	v_mul_u32_u24_sdwa v0, v131, v137 dst_sel:DWORD dst_unused:UNUSED_PAD src0_sel:WORD_0 src1_sel:DWORD
	v_add_f64 v[50:51], v[112:113], v[58:59]
	v_add_f64 v[52:53], v[106:107], v[124:125]
	v_lshlrev_b32_sdwa v1, v138, v132 dst_sel:DWORD dst_unused:UNUSED_PAD src0_sel:DWORD src1_sel:BYTE_0
	v_add_nc_u32_e32 v106, 0x2c00, v77
                                        ; implicit-def: $vgpr58_vgpr59
	v_add3_u32 v104, 0, v0, v1
	ds_write2_b64 v104, v[12:13], v[10:11] offset0:34 offset1:51
	ds_write2_b64 v104, v[8:9], v[126:127] offset1:17
	ds_write2_b64 v104, v[4:5], v[16:17] offset0:68 offset1:85
	ds_write2_b64 v104, v[6:7], v[108:109] offset0:102 offset1:119
	;; [unrolled: 1-line block ×6, first 2 shown]
	ds_write_b64 v104, v[52:53] offset:2176
	s_waitcnt lgkmcnt(0)
	s_barrier
	buffer_gl0_inv
	ds_read2_b64 v[0:3], v77 offset1:102
	ds_read2_b64 v[12:15], v128 offset0:33 offset1:135
	ds_read2_b64 v[4:7], v129 offset0:66 offset1:168
	;; [unrolled: 1-line block ×5, first 2 shown]
	s_and_saveexec_b32 s1, s0
	s_cbranch_execz .LBB0_13
; %bb.12:
	ds_read_b64 v[48:49], v77 offset:1632
	ds_read_b64 v[54:55], v77 offset:3944
	;; [unrolled: 1-line block ×6, first 2 shown]
.LBB0_13:
	s_or_b32 exec_lo, exec_lo, s1
	v_add_f64 v[122:123], v[96:97], v[80:81]
	v_add_f64 v[96:97], v[24:25], v[96:97]
	v_add_f64 v[44:45], v[72:73], -v[44:45]
	v_add_f64 v[32:33], v[34:35], -v[32:33]
	;; [unrolled: 1-line block ×7, first 2 shown]
	v_add_f64 v[40:41], v[84:85], v[82:83]
	s_waitcnt lgkmcnt(0)
	s_barrier
	buffer_gl0_inv
	v_add_f64 v[72:73], v[96:97], v[86:87]
	v_add_f64 v[86:87], v[86:87], v[26:27]
	v_mul_f64 v[98:99], v[62:63], s[40:41]
	v_mul_f64 v[100:101], v[62:63], s[46:47]
	v_mul_f64 v[107:108], v[62:63], s[50:51]
	v_mul_f64 v[109:110], v[62:63], s[42:43]
	v_mul_f64 v[111:112], v[62:63], s[24:25]
	v_mul_f64 v[113:114], v[62:63], s[34:35]
	v_mul_f64 v[120:121], v[62:63], s[38:39]
	v_mul_f64 v[62:63], v[62:63], s[28:29]
	v_add_f64 v[34:35], v[72:73], v[84:85]
	v_mul_f64 v[72:73], v[88:89], s[34:35]
	v_mul_f64 v[84:85], v[88:89], s[54:55]
	v_fma_f64 v[124:125], v[122:123], s[14:15], v[98:99]
	v_fma_f64 v[98:99], v[122:123], s[14:15], -v[98:99]
	v_fma_f64 v[126:127], v[122:123], s[12:13], v[100:101]
	v_fma_f64 v[100:101], v[122:123], s[12:13], -v[100:101]
	;; [unrolled: 2-line block ×8, first 2 shown]
	v_add_f64 v[34:35], v[34:35], v[68:69]
	v_add_f64 v[122:123], v[24:25], v[124:125]
	;; [unrolled: 1-line block ×17, first 2 shown]
	v_add_f64 v[62:63], v[92:93], -v[94:95]
	v_add_f64 v[34:35], v[34:35], v[64:65]
	v_add_f64 v[64:65], v[64:65], v[70:71]
	v_mul_f64 v[92:93], v[62:63], s[46:47]
	v_mul_f64 v[94:95], v[62:63], s[42:43]
	v_mul_f64 v[96:97], v[62:63], s[34:35]
	v_add_f64 v[34:35], v[34:35], v[60:61]
	v_mul_f64 v[102:103], v[62:63], s[28:29]
	v_mul_f64 v[115:116], v[62:63], s[52:53]
	;; [unrolled: 1-line block ×5, first 2 shown]
	v_add_f64 v[60:61], v[60:61], v[46:47]
	v_fma_f64 v[143:144], v[86:87], s[12:13], v[92:93]
	v_fma_f64 v[92:93], v[86:87], s[12:13], -v[92:93]
	v_fma_f64 v[145:146], v[86:87], s[4:5], v[94:95]
	v_add_f64 v[34:35], v[34:35], v[38:39]
	v_fma_f64 v[94:95], v[86:87], s[4:5], -v[94:95]
	v_fma_f64 v[147:148], v[86:87], s[18:19], v[96:97]
	v_fma_f64 v[96:97], v[86:87], s[18:19], -v[96:97]
	v_fma_f64 v[149:150], v[86:87], s[6:7], v[102:103]
	;; [unrolled: 2-line block ×6, first 2 shown]
	v_fma_f64 v[62:63], v[86:87], s[14:15], -v[62:63]
	v_add_f64 v[38:39], v[38:39], v[42:43]
	v_add_f64 v[86:87], v[143:144], v[122:123]
	;; [unrolled: 1-line block ×11, first 2 shown]
	v_mul_f64 v[123:124], v[88:89], s[48:49]
	v_mul_f64 v[125:126], v[88:89], s[30:31]
	;; [unrolled: 1-line block ×4, first 2 shown]
	v_add_f64 v[111:112], v[115:116], v[111:112]
	v_add_f64 v[115:116], v[153:154], v[135:136]
	;; [unrolled: 1-line block ×6, first 2 shown]
	v_fma_f64 v[137:138], v[40:41], s[18:19], v[72:73]
	v_fma_f64 v[72:73], v[40:41], s[18:19], -v[72:73]
	v_fma_f64 v[139:140], v[40:41], s[6:7], v[84:85]
	v_fma_f64 v[84:85], v[40:41], s[6:7], -v[84:85]
	v_add_f64 v[24:25], v[62:63], v[24:25]
	v_add_f64 v[34:35], v[34:35], v[28:29]
	;; [unrolled: 1-line block ×3, first 2 shown]
	v_fma_f64 v[141:142], v[40:41], s[16:17], v[123:124]
	v_fma_f64 v[123:124], v[40:41], s[16:17], -v[123:124]
	v_fma_f64 v[143:144], v[40:41], s[12:13], v[125:126]
	v_fma_f64 v[125:126], v[40:41], s[12:13], -v[125:126]
	;; [unrolled: 2-line block ×4, first 2 shown]
	v_add_f64 v[72:73], v[72:73], v[94:95]
	v_add_f64 v[84:85], v[84:85], v[96:97]
	;; [unrolled: 1-line block ×3, first 2 shown]
	v_mul_f64 v[42:43], v[88:89], s[50:51]
	v_mul_f64 v[88:89], v[88:89], s[38:39]
	v_add_f64 v[94:95], v[123:124], v[102:103]
	v_add_f64 v[96:97], v[143:144], v[109:110]
	v_mul_f64 v[123:124], v[74:75], s[44:45]
	v_add_f64 v[102:103], v[131:132], v[113:114]
	v_mul_f64 v[113:114], v[74:75], s[28:29]
	;; [unrolled: 2-line block ×3, first 2 shown]
	v_add_f64 v[34:35], v[34:35], v[46:47]
	v_fma_f64 v[135:136], v[40:41], s[10:11], v[42:43]
	v_fma_f64 v[42:43], v[40:41], s[10:11], -v[42:43]
	v_fma_f64 v[149:150], v[40:41], s[22:23], v[88:89]
	v_fma_f64 v[40:41], v[40:41], s[22:23], -v[88:89]
	v_add_f64 v[88:89], v[139:140], v[100:101]
	v_add_f64 v[100:101], v[145:146], v[115:116]
	;; [unrolled: 1-line block ×3, first 2 shown]
	v_mul_f64 v[68:69], v[74:75], s[42:43]
	v_mul_f64 v[115:116], v[74:75], s[48:49]
	v_add_f64 v[34:35], v[34:35], v[70:71]
	v_add_f64 v[62:63], v[135:136], v[86:87]
	;; [unrolled: 1-line block ×8, first 2 shown]
	v_mul_f64 v[117:118], v[74:75], s[36:37]
	v_mul_f64 v[121:122], v[74:75], s[38:39]
	;; [unrolled: 1-line block ×3, first 2 shown]
	v_fma_f64 v[125:126], v[46:47], s[4:5], v[68:69]
	v_fma_f64 v[68:69], v[46:47], s[4:5], -v[68:69]
	v_fma_f64 v[131:132], v[46:47], s[6:7], v[113:114]
	v_fma_f64 v[113:114], v[46:47], s[6:7], -v[113:114]
	;; [unrolled: 2-line block ×5, first 2 shown]
	v_add_f64 v[24:25], v[40:41], v[24:25]
	v_mul_f64 v[70:71], v[90:91], s[24:25]
	v_add_f64 v[34:35], v[34:35], v[66:67]
	v_mul_f64 v[66:67], v[44:45], s[34:35]
	v_fma_f64 v[135:136], v[46:47], s[14:15], v[117:118]
	v_fma_f64 v[117:118], v[46:47], s[14:15], -v[117:118]
	v_fma_f64 v[139:140], v[46:47], s[22:23], v[121:122]
	v_fma_f64 v[121:122], v[46:47], s[22:23], -v[121:122]
	;; [unrolled: 2-line block ×3, first 2 shown]
	v_add_f64 v[40:41], v[125:126], v[62:63]
	v_add_f64 v[42:43], v[68:69], v[42:43]
	;; [unrolled: 1-line block ×7, first 2 shown]
	v_mul_f64 v[113:114], v[90:91], s[28:29]
	v_mul_f64 v[115:116], v[90:91], s[20:21]
	v_add_f64 v[34:35], v[34:35], v[82:83]
	v_mul_f64 v[82:83], v[36:37], s[38:39]
	v_add_f64 v[84:85], v[135:136], v[92:93]
	v_add_f64 v[86:87], v[117:118], v[94:95]
	;; [unrolled: 1-line block ×8, first 2 shown]
	v_mul_f64 v[107:108], v[90:91], s[52:53]
	v_mul_f64 v[109:110], v[90:91], s[30:31]
	;; [unrolled: 1-line block ×5, first 2 shown]
	v_fma_f64 v[119:120], v[64:65], s[16:17], v[70:71]
	v_fma_f64 v[70:71], v[64:65], s[16:17], -v[70:71]
	v_fma_f64 v[131:132], v[64:65], s[6:7], v[113:114]
	v_fma_f64 v[113:114], v[64:65], s[6:7], -v[113:114]
	;; [unrolled: 2-line block ×3, first 2 shown]
	v_add_f64 v[24:25], v[46:47], v[24:25]
	v_add_f64 v[26:27], v[34:35], v[26:27]
	v_mul_f64 v[34:35], v[32:33], s[34:35]
	v_fma_f64 v[121:122], v[64:65], s[22:23], v[107:108]
	v_fma_f64 v[107:108], v[64:65], s[22:23], -v[107:108]
	v_fma_f64 v[123:124], v[64:65], s[12:13], v[109:110]
	v_fma_f64 v[109:110], v[64:65], s[12:13], -v[109:110]
	;; [unrolled: 2-line block ×5, first 2 shown]
	v_add_f64 v[42:43], v[70:71], v[42:43]
	v_add_f64 v[90:91], v[115:116], v[96:97]
	;; [unrolled: 1-line block ×16, first 2 shown]
	v_mul_f64 v[98:99], v[44:45], s[48:49]
	v_mul_f64 v[100:101], v[44:45], s[40:41]
	;; [unrolled: 1-line block ×7, first 2 shown]
	v_fma_f64 v[113:114], v[60:61], s[18:19], v[66:67]
	v_fma_f64 v[66:67], v[60:61], s[18:19], -v[66:67]
	v_add_f64 v[24:25], v[64:65], v[24:25]
	v_fma_f64 v[115:116], v[60:61], s[16:17], v[98:99]
	v_fma_f64 v[98:99], v[60:61], s[16:17], -v[98:99]
	v_fma_f64 v[117:118], v[60:61], s[14:15], v[100:101]
	v_fma_f64 v[100:101], v[60:61], s[14:15], -v[100:101]
	;; [unrolled: 2-line block ×7, first 2 shown]
	v_add_f64 v[42:43], v[66:67], v[42:43]
	v_add_f64 v[40:41], v[113:114], v[40:41]
	v_add_f64 v[46:47], v[115:116], v[46:47]
	v_add_f64 v[60:61], v[98:99], v[62:63]
	v_add_f64 v[62:63], v[117:118], v[68:69]
	v_add_f64 v[64:65], v[100:101], v[70:71]
	v_add_f64 v[66:67], v[119:120], v[72:73]
	v_add_f64 v[68:69], v[102:103], v[74:75]
	v_add_f64 v[70:71], v[121:122], v[84:85]
	v_add_f64 v[72:73], v[107:108], v[86:87]
	v_add_f64 v[74:75], v[123:124], v[88:89]
	v_add_f64 v[84:85], v[109:110], v[90:91]
	v_add_f64 v[86:87], v[125:126], v[92:93]
	v_add_f64 v[88:89], v[111:112], v[94:95]
	v_add_f64 v[90:91], v[131:132], v[96:97]
	v_mul_f64 v[92:93], v[36:37], s[26:27]
	v_mul_f64 v[94:95], v[36:37], s[42:43]
	;; [unrolled: 1-line block ×7, first 2 shown]
	v_fma_f64 v[107:108], v[38:39], s[22:23], v[82:83]
	v_fma_f64 v[82:83], v[38:39], s[22:23], -v[82:83]
	v_add_f64 v[24:25], v[44:45], v[24:25]
	v_fma_f64 v[109:110], v[38:39], s[10:11], v[92:93]
	v_fma_f64 v[92:93], v[38:39], s[10:11], -v[92:93]
	v_fma_f64 v[111:112], v[38:39], s[4:5], v[94:95]
	v_fma_f64 v[94:95], v[38:39], s[4:5], -v[94:95]
	v_fma_f64 v[113:114], v[38:39], s[18:19], v[96:97]
	v_fma_f64 v[96:97], v[38:39], s[18:19], -v[96:97]
	v_fma_f64 v[115:116], v[38:39], s[14:15], v[98:99]
	v_fma_f64 v[98:99], v[38:39], s[14:15], -v[98:99]
	v_fma_f64 v[117:118], v[38:39], s[6:7], v[100:101]
	v_fma_f64 v[100:101], v[38:39], s[6:7], -v[100:101]
	v_fma_f64 v[119:120], v[38:39], s[12:13], v[102:103]
	v_fma_f64 v[102:103], v[38:39], s[12:13], -v[102:103]
	v_fma_f64 v[121:122], v[38:39], s[16:17], v[36:37]
	v_fma_f64 v[36:37], v[38:39], s[16:17], -v[36:37]
	v_add_f64 v[30:31], v[107:108], v[40:41]
	v_add_f64 v[38:39], v[82:83], v[42:43]
	;; [unrolled: 1-line block ×12, first 2 shown]
	v_mul_f64 v[66:67], v[32:33], s[36:37]
	v_add_f64 v[82:83], v[119:120], v[86:87]
	v_mul_f64 v[68:69], v[32:33], s[38:39]
	v_add_f64 v[84:85], v[102:103], v[88:89]
	v_mul_f64 v[86:87], v[32:33], s[30:31]
	v_add_f64 v[88:89], v[121:122], v[90:91]
	v_mul_f64 v[90:91], v[32:33], s[26:27]
	v_add_f64 v[24:25], v[36:37], v[24:25]
	v_mul_f64 v[36:37], v[32:33], s[24:25]
	v_mul_f64 v[92:93], v[32:33], s[20:21]
	;; [unrolled: 1-line block ×3, first 2 shown]
	v_fma_f64 v[102:103], v[28:29], s[18:19], v[34:35]
	v_fma_f64 v[34:35], v[28:29], s[18:19], -v[34:35]
	v_fma_f64 v[94:95], v[28:29], s[14:15], v[66:67]
	v_fma_f64 v[66:67], v[28:29], s[14:15], -v[66:67]
	;; [unrolled: 2-line block ×5, first 2 shown]
	v_fma_f64 v[109:110], v[28:29], s[16:17], v[36:37]
	v_fma_f64 v[111:112], v[28:29], s[4:5], v[92:93]
	;; [unrolled: 1-line block ×3, first 2 shown]
	v_fma_f64 v[92:93], v[28:29], s[4:5], -v[92:93]
	v_fma_f64 v[36:37], v[28:29], s[16:17], -v[36:37]
	;; [unrolled: 1-line block ×3, first 2 shown]
	v_add_f64 v[32:33], v[94:95], v[40:41]
	v_add_f64 v[40:41], v[96:97], v[44:45]
	;; [unrolled: 1-line block ×16, first 2 shown]
	ds_write2_b64 v104, v[26:27], v[30:31] offset1:17
	ds_write2_b64 v104, v[32:33], v[40:41] offset0:34 offset1:51
	ds_write2_b64 v104, v[42:43], v[44:45] offset0:68 offset1:85
	;; [unrolled: 1-line block ×7, first 2 shown]
	ds_write_b64 v104, v[64:65] offset:2176
	s_waitcnt lgkmcnt(0)
	s_barrier
	buffer_gl0_inv
	ds_read2_b64 v[24:27], v77 offset1:102
	ds_read2_b64 v[36:39], v128 offset0:33 offset1:135
	ds_read2_b64 v[28:31], v129 offset0:66 offset1:168
	;; [unrolled: 1-line block ×5, first 2 shown]
                                        ; implicit-def: $vgpr70_vgpr71
	s_and_saveexec_b32 s1, s0
	s_cbranch_execz .LBB0_15
; %bb.14:
	ds_read_b64 v[60:61], v77 offset:1632
	ds_read_b64 v[66:67], v77 offset:3944
	;; [unrolled: 1-line block ×6, first 2 shown]
.LBB0_15:
	s_or_b32 exec_lo, exec_lo, s1
	s_and_saveexec_b32 s1, vcc_lo
	s_cbranch_execz .LBB0_18
; %bb.16:
	v_mul_u32_u24_e32 v73, 5, v76
	v_add_nc_u32_e32 v72, 0x66, v76
	s_mov_b32 s6, 0xe8584caa
	s_mov_b32 s7, 0x3febb67a
	;; [unrolled: 1-line block ×3, first 2 shown]
	v_lshlrev_b32_e32 v73, 4, v73
	v_mul_u32_u24_e32 v72, 5, v72
	s_mov_b32 s4, s6
	v_add_co_u32 v73, s1, s8, v73
	v_add_co_ci_u32_e64 v74, null, s9, 0, s1
	v_lshlrev_b32_e32 v72, 4, v72
	v_add_co_u32 v112, vcc_lo, 0x1100, v73
	v_add_co_ci_u32_e32 v113, vcc_lo, 0, v74, vcc_lo
	v_add_co_u32 v92, vcc_lo, 0x1000, v73
	v_add_co_u32 v77, s1, s8, v72
	v_add_co_ci_u32_e32 v93, vcc_lo, 0, v74, vcc_lo
	v_add_co_ci_u32_e64 v84, null, s9, 0, s1
	s_clause 0x1
	global_load_dwordx4 v[72:75], v[112:113], off offset:32
	global_load_dwordx4 v[80:83], v[92:93], off offset:320
	v_add_co_u32 v108, vcc_lo, 0x1100, v77
	v_add_co_ci_u32_e32 v109, vcc_lo, 0, v84, vcc_lo
	v_add_co_u32 v96, vcc_lo, 0x1000, v77
	v_add_co_ci_u32_e32 v97, vcc_lo, 0, v84, vcc_lo
	s_clause 0x7
	global_load_dwordx4 v[84:87], v[108:109], off offset:32
	global_load_dwordx4 v[88:91], v[96:97], off offset:320
	;; [unrolled: 1-line block ×8, first 2 shown]
	v_mov_b32_e32 v77, 0
	v_add_co_u32 v126, vcc_lo, s2, v78
	v_add_co_ci_u32_e32 v127, vcc_lo, s3, v79, vcc_lo
	v_lshlrev_b64 v[78:79], 4, v[76:77]
	s_waitcnt vmcnt(9) lgkmcnt(2)
	v_mul_f64 v[116:117], v[40:41], v[74:75]
	s_waitcnt vmcnt(8) lgkmcnt(0)
	v_mul_f64 v[118:119], v[44:45], v[82:83]
	v_mul_f64 v[74:75], v[16:17], v[74:75]
	;; [unrolled: 1-line block ×3, first 2 shown]
	s_waitcnt vmcnt(7)
	v_mul_f64 v[120:121], v[42:43], v[86:87]
	s_waitcnt vmcnt(6)
	v_mul_f64 v[122:123], v[46:47], v[90:91]
	v_mul_f64 v[86:87], v[18:19], v[86:87]
	v_mul_f64 v[90:91], v[22:23], v[90:91]
	s_waitcnt vmcnt(5)
	v_mul_f64 v[124:125], v[36:37], v[94:95]
	v_mul_f64 v[94:95], v[12:13], v[94:95]
	v_fma_f64 v[116:117], v[16:17], v[72:73], -v[116:117]
	v_fma_f64 v[20:21], v[20:21], v[80:81], -v[118:119]
	v_fma_f64 v[40:41], v[40:41], v[72:73], v[74:75]
	v_fma_f64 v[44:45], v[44:45], v[80:81], v[82:83]
	s_waitcnt vmcnt(4)
	v_mul_f64 v[72:73], v[38:39], v[98:99]
	v_mul_f64 v[74:75], v[14:15], v[98:99]
	v_fma_f64 v[18:19], v[18:19], v[84:85], -v[120:121]
	v_fma_f64 v[22:23], v[22:23], v[88:89], -v[122:123]
	v_fma_f64 v[42:43], v[42:43], v[84:85], v[86:87]
	v_fma_f64 v[46:47], v[46:47], v[88:89], v[90:91]
	v_add_co_u32 v16, vcc_lo, v126, v78
	v_add_co_ci_u32_e32 v17, vcc_lo, v127, v79, vcc_lo
	s_waitcnt vmcnt(3)
	v_mul_f64 v[78:79], v[32:33], v[102:103]
	v_mul_f64 v[80:81], v[8:9], v[102:103]
	s_waitcnt vmcnt(2)
	v_mul_f64 v[82:83], v[30:31], v[106:107]
	s_waitcnt vmcnt(1)
	v_mul_f64 v[84:85], v[34:35], v[110:111]
	v_mul_f64 v[86:87], v[6:7], v[106:107]
	s_waitcnt vmcnt(0)
	v_mul_f64 v[90:91], v[28:29], v[114:115]
	v_mul_f64 v[98:99], v[4:5], v[114:115]
	v_fma_f64 v[12:13], v[12:13], v[92:93], -v[124:125]
	v_fma_f64 v[36:37], v[36:37], v[92:93], v[94:95]
	v_add_f64 v[92:93], v[116:117], v[20:21]
	v_mul_f64 v[88:89], v[10:11], v[110:111]
	v_add_f64 v[94:95], v[40:41], v[44:45]
	v_fma_f64 v[14:15], v[14:15], v[96:97], -v[72:73]
	v_fma_f64 v[38:39], v[38:39], v[96:97], v[74:75]
	v_add_co_u32 v102, vcc_lo, 0x1000, v16
	v_add_f64 v[72:73], v[18:19], v[22:23]
	v_add_f64 v[74:75], v[42:43], v[46:47]
	v_add_co_ci_u32_e32 v103, vcc_lo, 0, v17, vcc_lo
	v_add_co_u32 v96, vcc_lo, 0x2000, v16
	v_fma_f64 v[8:9], v[8:9], v[100:101], -v[78:79]
	v_fma_f64 v[32:33], v[32:33], v[100:101], v[80:81]
	v_fma_f64 v[6:7], v[6:7], v[104:105], -v[82:83]
	v_fma_f64 v[10:11], v[10:11], v[108:109], -v[84:85]
	v_fma_f64 v[30:31], v[30:31], v[104:105], v[86:87]
	v_fma_f64 v[78:79], v[4:5], v[112:113], -v[90:91]
	v_fma_f64 v[28:29], v[28:29], v[112:113], v[98:99]
	v_add_f64 v[80:81], v[40:41], -v[44:45]
	v_add_f64 v[82:83], v[116:117], -v[20:21]
	v_fma_f64 v[84:85], v[92:93], -0.5, v[12:13]
	v_fma_f64 v[34:35], v[34:35], v[108:109], v[88:89]
	v_fma_f64 v[86:87], v[94:95], -0.5, v[36:37]
	v_add_f64 v[88:89], v[42:43], -v[46:47]
	v_add_f64 v[90:91], v[18:19], -v[22:23]
	v_add_f64 v[36:37], v[36:37], v[40:41]
	v_add_f64 v[12:13], v[12:13], v[116:117]
	v_fma_f64 v[72:73], v[72:73], -0.5, v[14:15]
	v_fma_f64 v[74:75], v[74:75], -0.5, v[38:39]
	v_add_f64 v[38:39], v[38:39], v[42:43]
	v_add_f64 v[14:15], v[14:15], v[18:19]
	v_add_co_ci_u32_e32 v97, vcc_lo, 0, v17, vcc_lo
	v_add_co_u32 v4, vcc_lo, 0x3000, v16
	v_add_co_ci_u32_e32 v5, vcc_lo, 0, v17, vcc_lo
	v_add_f64 v[104:105], v[6:7], -v[10:11]
	v_add_f64 v[100:101], v[78:79], v[8:9]
	v_add_f64 v[40:41], v[28:29], v[32:33]
	;; [unrolled: 1-line block ×4, first 2 shown]
	v_fma_f64 v[108:109], v[80:81], s[6:7], v[84:85]
	v_add_f64 v[98:99], v[30:31], v[34:35]
	v_fma_f64 v[106:107], v[82:83], s[6:7], v[86:87]
	v_fma_f64 v[82:83], v[82:83], s[4:5], v[86:87]
	;; [unrolled: 1-line block ×3, first 2 shown]
	v_add_f64 v[84:85], v[6:7], v[10:11]
	v_add_f64 v[86:87], v[26:27], v[30:31]
	v_fma_f64 v[112:113], v[88:89], s[6:7], v[72:73]
	v_fma_f64 v[110:111], v[90:91], s[6:7], v[74:75]
	;; [unrolled: 1-line block ×4, first 2 shown]
	v_add_f64 v[6:7], v[2:3], v[6:7]
	v_add_f64 v[78:79], v[78:79], -v[8:9]
	v_add_f64 v[28:29], v[28:29], -v[32:33]
	v_add_f64 v[36:37], v[36:37], v[44:45]
	v_add_f64 v[30:31], v[30:31], -v[34:35]
	v_add_f64 v[14:15], v[14:15], v[22:23]
	v_add_f64 v[38:39], v[38:39], v[46:47]
	v_fma_f64 v[0:1], v[100:101], -0.5, v[0:1]
	v_fma_f64 v[24:25], v[40:41], -0.5, v[24:25]
	v_add_f64 v[22:23], v[18:19], v[32:33]
	v_add_f64 v[32:33], v[42:43], v[8:9]
	v_mul_f64 v[44:45], v[108:109], s[4:5]
	v_fma_f64 v[26:27], v[98:99], -0.5, v[26:27]
	v_mul_f64 v[40:41], v[106:107], -0.5
	v_mul_f64 v[90:91], v[82:83], s[6:7]
	v_mul_f64 v[88:89], v[80:81], -0.5
	v_fma_f64 v[2:3], v[84:85], -0.5, v[2:3]
	v_add_f64 v[84:85], v[12:13], v[20:21]
	v_mul_f64 v[20:21], v[112:113], s[4:5]
	v_mul_f64 v[12:13], v[110:111], -0.5
	v_mul_f64 v[100:101], v[74:75], s[6:7]
	v_mul_f64 v[98:99], v[72:73], -0.5
	v_add_f64 v[34:35], v[86:87], v[34:35]
	v_add_f64 v[10:11], v[6:7], v[10:11]
	v_add_co_u32 v92, vcc_lo, 0x4800, v16
	v_add_co_ci_u32_e32 v93, vcc_lo, 0, v17, vcc_lo
	v_add_co_u32 v94, vcc_lo, 0x5800, v16
	v_fma_f64 v[42:43], v[78:79], s[6:7], v[24:25]
	v_fma_f64 v[78:79], v[78:79], s[4:5], v[24:25]
	;; [unrolled: 1-line block ×3, first 2 shown]
	v_fma_f64 v[44:45], v[82:83], 0.5, v[44:45]
	v_fma_f64 v[46:47], v[104:105], s[6:7], v[26:27]
	v_fma_f64 v[40:41], v[80:81], s[4:5], v[40:41]
	v_fma_f64 v[82:83], v[108:109], 0.5, v[90:91]
	v_fma_f64 v[86:87], v[104:105], s[4:5], v[26:27]
	v_fma_f64 v[104:105], v[28:29], s[4:5], v[0:1]
	;; [unrolled: 1-line block ×5, first 2 shown]
	v_fma_f64 v[106:107], v[74:75], 0.5, v[20:21]
	v_fma_f64 v[100:101], v[112:113], 0.5, v[100:101]
	v_fma_f64 v[90:91], v[72:73], s[4:5], v[12:13]
	v_fma_f64 v[98:99], v[110:111], s[6:7], v[98:99]
	v_add_f64 v[20:21], v[22:23], -v[36:37]
	v_add_f64 v[24:25], v[22:23], v[36:37]
	v_add_f64 v[22:23], v[32:33], v[84:85]
	v_add_f64 v[18:19], v[32:33], -v[84:85]
	v_add_f64 v[6:7], v[10:11], -v[14:15]
	v_add_f64 v[12:13], v[34:35], v[38:39]
	v_add_f64 v[10:11], v[10:11], v[14:15]
	v_add_f64 v[8:9], v[34:35], -v[38:39]
	v_add_co_ci_u32_e32 v95, vcc_lo, 0, v17, vcc_lo
	v_add_co_u32 v0, vcc_lo, 0x1800, v16
	v_add_f64 v[28:29], v[42:43], -v[40:41]
	v_add_f64 v[36:37], v[42:43], v[40:41]
	v_add_f64 v[40:41], v[78:79], v[44:45]
	;; [unrolled: 1-line block ×4, first 2 shown]
	v_add_f64 v[32:33], v[78:79], -v[44:45]
	v_add_f64 v[30:31], v[114:115], -v[82:83]
	;; [unrolled: 1-line block ×3, first 2 shown]
	v_add_co_ci_u32_e32 v1, vcc_lo, 0, v17, vcc_lo
	v_add_f64 v[84:85], v[86:87], v[106:107]
	v_add_f64 v[82:83], v[2:3], v[100:101]
	;; [unrolled: 1-line block ×4, first 2 shown]
	v_add_co_u32 v14, vcc_lo, 0x2800, v16
	v_add_f64 v[74:75], v[86:87], -v[106:107]
	v_add_f64 v[72:73], v[2:3], -v[100:101]
	;; [unrolled: 1-line block ×4, first 2 shown]
	v_add_co_ci_u32_e32 v15, vcc_lo, 0, v17, vcc_lo
	v_add_co_u32 v46, vcc_lo, 0x3800, v16
	v_add_co_ci_u32_e32 v47, vcc_lo, 0, v17, vcc_lo
	v_add_co_u32 v2, vcc_lo, 0x6000, v16
	v_add_co_ci_u32_e32 v3, vcc_lo, 0, v17, vcc_lo
	global_store_dwordx4 v[16:17], v[22:25], off
	global_store_dwordx4 v[4:5], v[18:21], off offset:1584
	global_store_dwordx4 v[16:17], v[10:13], off offset:1632
	;; [unrolled: 1-line block ×11, first 2 shown]
	s_and_b32 exec_lo, exec_lo, s0
	s_cbranch_execz .LBB0_18
; %bb.17:
	v_mov_b32_e32 v6, 0xcc
	v_cndmask_b32_e64 v6, 0xffffffab, v6, s0
	v_add_nc_u32_e32 v6, v76, v6
	v_mul_i32_i24_e32 v76, 5, v6
	v_lshlrev_b64 v[6:7], 4, v[76:77]
	v_add_co_u32 v6, vcc_lo, s8, v6
	v_add_co_ci_u32_e32 v7, vcc_lo, s9, v7, vcc_lo
	v_add_co_u32 v14, vcc_lo, 0x1100, v6
	v_add_co_ci_u32_e32 v15, vcc_lo, 0, v7, vcc_lo
	v_add_co_u32 v18, vcc_lo, 0x1000, v6
	v_add_co_ci_u32_e32 v19, vcc_lo, 0, v7, vcc_lo
	s_clause 0x4
	global_load_dwordx4 v[6:9], v[14:15], off offset:32
	global_load_dwordx4 v[10:13], v[18:19], off offset:320
	;; [unrolled: 1-line block ×5, first 2 shown]
	s_waitcnt vmcnt(4)
	v_mul_f64 v[14:15], v[68:69], v[8:9]
	v_mul_f64 v[8:9], v[56:57], v[8:9]
	s_waitcnt vmcnt(3)
	v_mul_f64 v[30:31], v[58:59], v[12:13]
	v_mul_f64 v[12:13], v[70:71], v[12:13]
	;; [unrolled: 3-line block ×3, first 2 shown]
	v_fma_f64 v[14:15], v[56:57], v[6:7], -v[14:15]
	v_fma_f64 v[6:7], v[68:69], v[6:7], v[8:9]
	v_fma_f64 v[8:9], v[70:71], v[10:11], v[30:31]
	v_fma_f64 v[10:11], v[58:59], v[10:11], -v[12:13]
	s_waitcnt vmcnt(1)
	v_mul_f64 v[12:13], v[62:63], v[24:25]
	v_mul_f64 v[24:25], v[50:51], v[24:25]
	s_waitcnt vmcnt(0)
	v_mul_f64 v[30:31], v[64:65], v[28:29]
	v_mul_f64 v[28:29], v[52:53], v[28:29]
	v_fma_f64 v[32:33], v[54:55], v[18:19], -v[32:33]
	v_fma_f64 v[18:19], v[66:67], v[18:19], v[20:21]
	v_add_f64 v[20:21], v[6:7], v[8:9]
	v_add_f64 v[34:35], v[14:15], v[10:11]
	v_fma_f64 v[12:13], v[50:51], v[22:23], -v[12:13]
	v_fma_f64 v[22:23], v[62:63], v[22:23], v[24:25]
	v_fma_f64 v[24:25], v[52:53], v[26:27], -v[30:31]
	v_fma_f64 v[26:27], v[64:65], v[26:27], v[28:29]
	v_add_f64 v[28:29], v[6:7], -v[8:9]
	v_add_f64 v[30:31], v[14:15], -v[10:11]
	v_add_f64 v[14:15], v[32:33], v[14:15]
	v_add_f64 v[6:7], v[18:19], v[6:7]
	v_fma_f64 v[20:21], v[20:21], -0.5, v[18:19]
	v_fma_f64 v[34:35], v[34:35], -0.5, v[32:33]
	v_add_f64 v[36:37], v[12:13], v[24:25]
	v_add_f64 v[38:39], v[22:23], v[26:27]
	;; [unrolled: 1-line block ×4, first 2 shown]
	v_fma_f64 v[40:41], v[30:31], s[4:5], v[20:21]
	v_fma_f64 v[42:43], v[28:29], s[4:5], v[34:35]
	;; [unrolled: 1-line block ×4, first 2 shown]
	v_add_f64 v[30:31], v[48:49], v[12:13]
	v_add_f64 v[34:35], v[22:23], -v[26:27]
	v_add_f64 v[22:23], v[60:61], v[22:23]
	v_fma_f64 v[18:19], v[36:37], -0.5, v[48:49]
	v_add_f64 v[12:13], v[12:13], -v[24:25]
	v_fma_f64 v[32:33], v[38:39], -0.5, v[60:61]
	v_mul_f64 v[36:37], v[40:41], s[6:7]
	v_mul_f64 v[38:39], v[42:43], -0.5
	v_mul_f64 v[44:45], v[28:29], s[4:5]
	v_mul_f64 v[46:47], v[20:21], -0.5
	v_add_f64 v[24:25], v[30:31], v[24:25]
	v_add_f64 v[22:23], v[22:23], v[26:27]
	v_fma_f64 v[26:27], v[34:35], s[6:7], v[18:19]
	v_fma_f64 v[30:31], v[34:35], s[4:5], v[18:19]
	;; [unrolled: 1-line block ×4, first 2 shown]
	v_fma_f64 v[28:29], v[28:29], 0.5, v[36:37]
	v_fma_f64 v[36:37], v[20:21], s[6:7], v[38:39]
	v_fma_f64 v[38:39], v[40:41], 0.5, v[44:45]
	v_fma_f64 v[40:41], v[42:43], s[4:5], v[46:47]
	v_add_f64 v[6:7], v[24:25], v[10:11]
	v_add_f64 v[10:11], v[24:25], -v[10:11]
	v_add_f64 v[8:9], v[22:23], v[14:15]
	v_add_f64 v[12:13], v[22:23], -v[14:15]
	v_add_co_u32 v14, vcc_lo, 0x800, v16
	v_add_co_ci_u32_e32 v15, vcc_lo, 0, v17, vcc_lo
	v_add_f64 v[18:19], v[26:27], v[28:29]
	v_add_f64 v[22:23], v[30:31], v[36:37]
	;; [unrolled: 1-line block ×4, first 2 shown]
	v_add_f64 v[26:27], v[26:27], -v[28:29]
	v_add_f64 v[28:29], v[34:35], -v[38:39]
	;; [unrolled: 1-line block ×4, first 2 shown]
	v_add_co_u32 v34, vcc_lo, 0x4000, v16
	v_add_co_ci_u32_e32 v35, vcc_lo, 0, v17, vcc_lo
	v_add_co_u32 v16, vcc_lo, 0x5000, v16
	v_add_co_ci_u32_e32 v17, vcc_lo, 0, v17, vcc_lo
	global_store_dwordx4 v[14:15], v[6:9], off offset:1216
	global_store_dwordx4 v[34:35], v[10:13], off offset:752
	;; [unrolled: 1-line block ×6, first 2 shown]
.LBB0_18:
	s_endpgm
	.section	.rodata,"a",@progbits
	.p2align	6, 0x0
	.amdhsa_kernel fft_rtc_fwd_len1734_factors_17_17_6_wgs_102_tpt_102_halfLds_dp_ip_CI_unitstride_sbrr_dirReg
		.amdhsa_group_segment_fixed_size 0
		.amdhsa_private_segment_fixed_size 0
		.amdhsa_kernarg_size 88
		.amdhsa_user_sgpr_count 6
		.amdhsa_user_sgpr_private_segment_buffer 1
		.amdhsa_user_sgpr_dispatch_ptr 0
		.amdhsa_user_sgpr_queue_ptr 0
		.amdhsa_user_sgpr_kernarg_segment_ptr 1
		.amdhsa_user_sgpr_dispatch_id 0
		.amdhsa_user_sgpr_flat_scratch_init 0
		.amdhsa_user_sgpr_private_segment_size 0
		.amdhsa_wavefront_size32 1
		.amdhsa_uses_dynamic_stack 0
		.amdhsa_system_sgpr_private_segment_wavefront_offset 0
		.amdhsa_system_sgpr_workgroup_id_x 1
		.amdhsa_system_sgpr_workgroup_id_y 0
		.amdhsa_system_sgpr_workgroup_id_z 0
		.amdhsa_system_sgpr_workgroup_info 0
		.amdhsa_system_vgpr_workitem_id 0
		.amdhsa_next_free_vgpr 248
		.amdhsa_next_free_sgpr 56
		.amdhsa_reserve_vcc 1
		.amdhsa_reserve_flat_scratch 0
		.amdhsa_float_round_mode_32 0
		.amdhsa_float_round_mode_16_64 0
		.amdhsa_float_denorm_mode_32 3
		.amdhsa_float_denorm_mode_16_64 3
		.amdhsa_dx10_clamp 1
		.amdhsa_ieee_mode 1
		.amdhsa_fp16_overflow 0
		.amdhsa_workgroup_processor_mode 1
		.amdhsa_memory_ordered 1
		.amdhsa_forward_progress 0
		.amdhsa_shared_vgpr_count 0
		.amdhsa_exception_fp_ieee_invalid_op 0
		.amdhsa_exception_fp_denorm_src 0
		.amdhsa_exception_fp_ieee_div_zero 0
		.amdhsa_exception_fp_ieee_overflow 0
		.amdhsa_exception_fp_ieee_underflow 0
		.amdhsa_exception_fp_ieee_inexact 0
		.amdhsa_exception_int_div_zero 0
	.end_amdhsa_kernel
	.text
.Lfunc_end0:
	.size	fft_rtc_fwd_len1734_factors_17_17_6_wgs_102_tpt_102_halfLds_dp_ip_CI_unitstride_sbrr_dirReg, .Lfunc_end0-fft_rtc_fwd_len1734_factors_17_17_6_wgs_102_tpt_102_halfLds_dp_ip_CI_unitstride_sbrr_dirReg
                                        ; -- End function
	.section	.AMDGPU.csdata,"",@progbits
; Kernel info:
; codeLenInByte = 17304
; NumSgprs: 58
; NumVgprs: 248
; ScratchSize: 0
; MemoryBound: 1
; FloatMode: 240
; IeeeMode: 1
; LDSByteSize: 0 bytes/workgroup (compile time only)
; SGPRBlocks: 7
; VGPRBlocks: 30
; NumSGPRsForWavesPerEU: 58
; NumVGPRsForWavesPerEU: 248
; Occupancy: 4
; WaveLimiterHint : 1
; COMPUTE_PGM_RSRC2:SCRATCH_EN: 0
; COMPUTE_PGM_RSRC2:USER_SGPR: 6
; COMPUTE_PGM_RSRC2:TRAP_HANDLER: 0
; COMPUTE_PGM_RSRC2:TGID_X_EN: 1
; COMPUTE_PGM_RSRC2:TGID_Y_EN: 0
; COMPUTE_PGM_RSRC2:TGID_Z_EN: 0
; COMPUTE_PGM_RSRC2:TIDIG_COMP_CNT: 0
	.text
	.p2alignl 6, 3214868480
	.fill 48, 4, 3214868480
	.type	__hip_cuid_3e6451fd8099ac2e,@object ; @__hip_cuid_3e6451fd8099ac2e
	.section	.bss,"aw",@nobits
	.globl	__hip_cuid_3e6451fd8099ac2e
__hip_cuid_3e6451fd8099ac2e:
	.byte	0                               ; 0x0
	.size	__hip_cuid_3e6451fd8099ac2e, 1

	.ident	"AMD clang version 19.0.0git (https://github.com/RadeonOpenCompute/llvm-project roc-6.4.0 25133 c7fe45cf4b819c5991fe208aaa96edf142730f1d)"
	.section	".note.GNU-stack","",@progbits
	.addrsig
	.addrsig_sym __hip_cuid_3e6451fd8099ac2e
	.amdgpu_metadata
---
amdhsa.kernels:
  - .args:
      - .actual_access:  read_only
        .address_space:  global
        .offset:         0
        .size:           8
        .value_kind:     global_buffer
      - .offset:         8
        .size:           8
        .value_kind:     by_value
      - .actual_access:  read_only
        .address_space:  global
        .offset:         16
        .size:           8
        .value_kind:     global_buffer
      - .actual_access:  read_only
        .address_space:  global
        .offset:         24
        .size:           8
        .value_kind:     global_buffer
      - .offset:         32
        .size:           8
        .value_kind:     by_value
      - .actual_access:  read_only
        .address_space:  global
        .offset:         40
        .size:           8
        .value_kind:     global_buffer
      - .actual_access:  read_only
        .address_space:  global
        .offset:         48
        .size:           8
        .value_kind:     global_buffer
      - .offset:         56
        .size:           4
        .value_kind:     by_value
      - .actual_access:  read_only
        .address_space:  global
        .offset:         64
        .size:           8
        .value_kind:     global_buffer
      - .actual_access:  read_only
        .address_space:  global
        .offset:         72
        .size:           8
        .value_kind:     global_buffer
      - .address_space:  global
        .offset:         80
        .size:           8
        .value_kind:     global_buffer
    .group_segment_fixed_size: 0
    .kernarg_segment_align: 8
    .kernarg_segment_size: 88
    .language:       OpenCL C
    .language_version:
      - 2
      - 0
    .max_flat_workgroup_size: 102
    .name:           fft_rtc_fwd_len1734_factors_17_17_6_wgs_102_tpt_102_halfLds_dp_ip_CI_unitstride_sbrr_dirReg
    .private_segment_fixed_size: 0
    .sgpr_count:     58
    .sgpr_spill_count: 0
    .symbol:         fft_rtc_fwd_len1734_factors_17_17_6_wgs_102_tpt_102_halfLds_dp_ip_CI_unitstride_sbrr_dirReg.kd
    .uniform_work_group_size: 1
    .uses_dynamic_stack: false
    .vgpr_count:     248
    .vgpr_spill_count: 0
    .wavefront_size: 32
    .workgroup_processor_mode: 1
amdhsa.target:   amdgcn-amd-amdhsa--gfx1030
amdhsa.version:
  - 1
  - 2
...

	.end_amdgpu_metadata
